;; amdgpu-corpus repo=ROCm/rocBLAS kind=compiled arch=gfx1250 opt=O3
	.amdgcn_target "amdgcn-amd-amdhsa--gfx1250"
	.amdhsa_code_object_version 6
	.section	.text._ZL20rocblas_hbmvn_kernelILi64ELi16EPK19rocblas_complex_numIfES3_PS1_EvbiiT1_T2_lllS6_lllS5_T3_llli,"axG",@progbits,_ZL20rocblas_hbmvn_kernelILi64ELi16EPK19rocblas_complex_numIfES3_PS1_EvbiiT1_T2_lllS6_lllS5_T3_llli,comdat
	.globl	_ZL20rocblas_hbmvn_kernelILi64ELi16EPK19rocblas_complex_numIfES3_PS1_EvbiiT1_T2_lllS6_lllS5_T3_llli ; -- Begin function _ZL20rocblas_hbmvn_kernelILi64ELi16EPK19rocblas_complex_numIfES3_PS1_EvbiiT1_T2_lllS6_lllS5_T3_llli
	.p2align	8
	.type	_ZL20rocblas_hbmvn_kernelILi64ELi16EPK19rocblas_complex_numIfES3_PS1_EvbiiT1_T2_lllS6_lllS5_T3_llli,@function
_ZL20rocblas_hbmvn_kernelILi64ELi16EPK19rocblas_complex_numIfES3_PS1_EvbiiT1_T2_lllS6_lllS5_T3_llli: ; @_ZL20rocblas_hbmvn_kernelILi64ELi16EPK19rocblas_complex_numIfES3_PS1_EvbiiT1_T2_lllS6_lllS5_T3_llli
; %bb.0:
	s_load_b64 s[2:3], s[0:1], 0x94
	s_wait_kmcnt 0x0
	s_lshr_b32 s4, s2, 16
	s_and_b32 s39, s2, 0xffff
	s_and_b32 s2, s3, 0xffff
	s_mul_i32 s3, s4, s39
	s_delay_alu instid0(SALU_CYCLE_1) | instskip(NEXT) | instid1(SALU_CYCLE_1)
	s_mul_i32 s3, s3, s2
	s_cmp_lg_u32 s3, 0x400
	s_cbranch_scc1 .LBB0_49
; %bb.1:
	s_clause 0x1
	s_load_b512 s[4:19], s[0:1], 0x10
	s_load_b256 s[20:27], s[0:1], 0x50
	s_wait_kmcnt 0x0
	s_load_b64 s[34:35], s[4:5], 0x0
	s_load_b64 s[40:41], s[22:23], 0x0
	s_wait_kmcnt 0x0
	s_cmp_eq_f32 s34, 0
	s_cselect_b32 s2, -1, 0
	s_cmp_eq_f32 s35, 0
	s_cselect_b32 s3, -1, 0
	s_delay_alu instid0(SALU_CYCLE_1) | instskip(SKIP_4) | instid1(SALU_CYCLE_1)
	s_and_b32 s2, s2, s3
	s_cmp_eq_f32 s40, 1.0
	s_cselect_b32 s3, -1, 0
	s_cmp_eq_f32 s41, 0
	s_cselect_b32 s4, -1, 0
	s_and_b32 s3, s3, s4
	s_delay_alu instid0(SALU_CYCLE_1) | instskip(NEXT) | instid1(SALU_CYCLE_1)
	s_and_b32 s2, s2, s3
	s_and_b32 vcc_lo, exec_lo, s2
	s_cbranch_vccnz .LBB0_49
; %bb.2:
	s_load_b32 s33, s[0:1], 0x80
	s_bfe_u32 s2, ttmp6, 0x40014
	s_lshr_b32 s3, ttmp7, 16
	s_add_co_i32 s2, s2, 1
	s_bfe_u32 s5, ttmp6, 0x40008
	s_mul_i32 s2, s3, s2
	s_getreg_b32 s4, hwreg(HW_REG_IB_STS2, 6, 4)
	s_add_co_i32 s5, s5, s2
	s_cmp_eq_u32 s4, 0
	s_cselect_b32 s22, s3, s5
	s_wait_kmcnt 0x0
	s_cmp_ge_u32 s22, s33
	s_cbranch_scc1 .LBB0_49
; %bb.3:
	s_clause 0x1
	s_load_b96 s[36:38], s[0:1], 0x0
	s_load_b128 s[28:31], s[0:1], 0x70
	s_lshl_b64 s[8:9], s[8:9], 3
	s_lshl_b64 s[2:3], s[26:27], 3
	v_and_b32_e32 v2, 0x3ff, v0
	v_bfe_u32 v0, v0, 10, 10
	s_add_nc_u64 s[24:25], s[24:25], s[2:3]
	s_mov_b32 s23, 0
	s_mov_b32 s26, s41
	;; [unrolled: 1-line block ×3, first 2 shown]
	v_mad_u32_u24 v0, v0, s39, v2
	v_mov_b32_e32 v1, 0
	s_mov_b32 s43, s34
	s_delay_alu instid0(VALU_DEP_1) | instskip(SKIP_3) | instid1(VALU_DEP_2)
	v_dual_mov_b32 v3, v1 :: v_dual_lshrrev_b32 v2, 6, v0
	v_and_b32_e32 v18, 63, v0
	s_wait_kmcnt 0x0
	s_bitcmp1_b32 s36, 0
	v_mul_u64_e32 v[14:15], s[18:19], v[2:3]
	s_cselect_b32 s0, -1, 0
	v_mul_u64_e32 v[10:11], s[10:11], v[2:3]
	s_and_b32 s1, s0, exec_lo
	s_cselect_b32 s1, s38, 0
	s_or_b32 s5, s34, s35
	s_xor_b32 s36, s0, -1
	s_bitset0_b32 s5, 31
	v_cmp_gt_i32_e64 s2, s37, v2
	s_cmp_lg_u32 s5, 0
	s_cselect_b32 s39, -1, 0
	s_cmp_eq_u32 s5, 0
	s_cselect_b32 s44, -1, 0
	s_bfe_u32 s5, ttmp6, 0x4000c
	s_and_b32 s27, ttmp6, 15
	s_add_co_i32 s5, s5, 1
	s_delay_alu instid0(SALU_CYCLE_1) | instskip(NEXT) | instid1(SALU_CYCLE_1)
	s_mul_i32 s5, ttmp9, s5
	s_add_co_i32 s27, s27, s5
	s_cmp_eq_u32 s4, 0
	s_cselect_b32 s4, ttmp9, s27
	s_mov_b32 s27, s40
	s_lshl_b32 s46, s4, 6
	s_cmp_eq_u32 s38, 0
	v_dual_add_nc_u32 v12, s46, v0 :: v_dual_bitop2_b32 v4, s46, v18 bitop3:0x54
	s_cselect_b32 s4, -1, 0
	v_lshlrev_b32_e32 v3, 3, v0
	s_or_b32 s45, s36, s4
	s_cmp_neq_f32 s40, 0
	v_ashrrev_i32_e32 v5, 31, v4
	v_ashrrev_i32_e32 v13, 31, v12
	v_lshl_add_u64 v[10:11], v[10:11], 3, s[6:7]
	s_cselect_b32 s48, -1, 0
	s_cmp_neq_f32 s41, 0
	v_lshlrev_b64_e32 v[16:17], 3, v[4:5]
	v_mul_u64_e32 v[6:7], s[10:11], v[4:5]
	v_sub_nc_u32_e32 v5, s1, v18
	s_cselect_b32 s49, -1, 0
	s_lshl_b64 s[4:5], s[10:11], 3
	v_mul_u64_e32 v[8:9], s[28:29], v[12:13]
	s_add_nc_u64 s[4:5], s[4:5], -8
	v_cmp_gt_u32_e64 s1, 64, v0
	v_mad_nc_u64_u32 v[16:17], v2, s4, v[16:17]
	v_subrev_nc_u32_e32 v5, s46, v5
	v_add3_u32 v0, s38, s46, v18
	s_lshl_b64 s[46:47], s[16:17], 3
	v_cmp_gt_i32_e64 s4, s37, v12
	s_add_nc_u64 s[14:15], s[14:15], s[46:47]
	v_cmp_gt_i32_e64 s3, s37, v4
	v_lshl_add_u64 v[12:13], v[14:15], 3, s[14:15]
	v_sub_nc_u32_e32 v32, v0, v2
	v_sub_nc_u32_e32 v33, v4, v2
	s_lshl_b64 s[10:11], s[10:11], 7
	v_mad_u32 v17, v2, s5, v17
	s_mov_b64 s[14:15], 0xffffffffffffff80
	s_add_nc_u64 s[28:29], s[6:7], s[8:9]
	s_lshl_b64 s[16:17], s[20:21], 3
	s_lshl_b64 s[18:19], s[18:19], 7
	s_or_b32 s46, s48, s49
	s_add_nc_u64 s[14:15], s[10:11], s[14:15]
	s_delay_alu instid0(VALU_DEP_1)
	v_add_nc_u64_e32 v[14:15], s[6:7], v[16:17]
	s_lshl_b64 s[6:7], s[12:13], 3
	s_branch .LBB0_6
.LBB0_4:                                ;   in Loop: Header=BB0_6 Depth=1
	s_delay_alu instid0(VALU_DEP_1)
	v_mov_b32_e32 v17, v21
	global_store_b64 v[18:19], v[16:17], off
.LBB0_5:                                ;   in Loop: Header=BB0_6 Depth=1
	s_wait_xcnt 0x0
	s_or_b32 exec_lo, exec_lo, s5
	s_add_co_i32 s22, s22, 0x10000
	s_delay_alu instid0(SALU_CYCLE_1)
	s_cmp_lt_u32 s22, s33
	s_cbranch_scc0 .LBB0_49
.LBB0_6:                                ; =>This Loop Header: Depth=1
                                        ;     Child Loop BB0_12 Depth 2
	s_and_not1_b32 vcc_lo, exec_lo, s39
	s_cbranch_vccnz .LBB0_38
; %bb.7:                                ;   in Loop: Header=BB0_6 Depth=1
	v_dual_mov_b32 v23, 0 :: v_dual_mov_b32 v22, 0
	s_and_saveexec_b32 s20, s2
	s_cbranch_execz .LBB0_37
; %bb.8:                                ;   in Loop: Header=BB0_6 Depth=1
	v_mad_nc_u64_u32 v[16:17], s16, s22, v[12:13]
	v_mad_nc_u64_u32 v[18:19], s6, s22, v[10:11]
	;; [unrolled: 1-line block ×3, first 2 shown]
	s_mul_u64 s[48:49], s[12:13], s[22:23]
	s_mul_i32 s5, s7, s22
	s_lshl_b64 s[48:49], s[48:49], 3
	v_mov_b64_e32 v[22:23], 0
	s_add_nc_u64 s[48:49], s[28:29], s[48:49]
	v_dual_mov_b32 v34, v33 :: v_dual_mov_b32 v26, v32
	v_lshl_add_u64 v[24:25], v[6:7], 3, s[48:49]
	v_mad_u32 v17, s17, s22, v17
	v_dual_add_nc_u32 v19, s5, v19 :: v_dual_add_nc_u32 v21, s5, v21
	v_mov_b32_e32 v35, v2
	s_mov_b32 s21, 0
	s_branch .LBB0_12
.LBB0_9:                                ;   in Loop: Header=BB0_12 Depth=2
	s_wait_xcnt 0x0
	s_or_b32 exec_lo, exec_lo, s5
.LBB0_10:                               ;   in Loop: Header=BB0_12 Depth=2
	s_delay_alu instid0(SALU_CYCLE_1)
	s_or_b32 exec_lo, exec_lo, s48
.LBB0_11:                               ;   in Loop: Header=BB0_12 Depth=2
	s_delay_alu instid0(SALU_CYCLE_1) | instskip(SKIP_1) | instid1(VALU_DEP_4)
	s_or_b32 exec_lo, exec_lo, s47
	v_dual_add_nc_u32 v35, 16, v35 :: v_dual_add_nc_u32 v26, -16, v26
	v_add_nc_u64_e32 v[16:17], s[18:19], v[16:17]
	v_add_nc_u64_e32 v[18:19], s[10:11], v[18:19]
	;; [unrolled: 1-line block ×3, first 2 shown]
	s_delay_alu instid0(VALU_DEP_4) | instskip(SKIP_2) | instid1(SALU_CYCLE_1)
	v_cmp_le_i32_e32 vcc_lo, s37, v35
	v_add_nc_u32_e32 v34, -16, v34
	s_or_b32 s21, vcc_lo, s21
	s_and_not1_b32 exec_lo, exec_lo, s21
	s_cbranch_execz .LBB0_36
.LBB0_12:                               ;   Parent Loop BB0_6 Depth=1
                                        ; =>  This Inner Loop Header: Depth=2
	s_and_saveexec_b32 s47, s3
	s_cbranch_execz .LBB0_11
; %bb.13:                               ;   in Loop: Header=BB0_12 Depth=2
	v_cmp_gt_i32_e32 vcc_lo, v4, v35
	v_cndmask_b32_e64 v0, 0, 1, vcc_lo
	v_cmp_lt_i32_e32 vcc_lo, v4, v35
	v_cndmask_b32_e64 v27, 0, 1, vcc_lo
	s_delay_alu instid0(VALU_DEP_1) | instskip(NEXT) | instid1(VALU_DEP_1)
	v_cndmask_b32_e64 v0, v27, v0, s0
	v_and_b32_e32 v0, 1, v0
	s_delay_alu instid0(VALU_DEP_1) | instskip(SKIP_1) | instid1(SALU_CYCLE_1)
	v_cmp_eq_u32_e32 vcc_lo, 1, v0
	s_xor_b32 s5, vcc_lo, -1
	s_and_saveexec_b32 s48, s5
	s_delay_alu instid0(SALU_CYCLE_1)
	s_xor_b32 s48, exec_lo, s48
	s_cbranch_execz .LBB0_33
; %bb.14:                               ;   in Loop: Header=BB0_12 Depth=2
	v_add_nc_u32_e32 v0, s38, v34
	s_delay_alu instid0(VALU_DEP_1) | instskip(NEXT) | instid1(VALU_DEP_1)
	v_cndmask_b32_e64 v0, v34, v0, s0
	v_cmp_le_i32_e32 vcc_lo, s38, v0
	v_cmp_gt_i32_e64 s5, 1, v0
	s_or_b32 s5, vcc_lo, s5
	s_delay_alu instid0(SALU_CYCLE_1) | instskip(NEXT) | instid1(SALU_CYCLE_1)
	s_and_saveexec_b32 s49, s5
	s_xor_b32 s5, exec_lo, s49
	s_cbranch_execz .LBB0_30
; %bb.15:                               ;   in Loop: Header=BB0_12 Depth=2
	s_mov_b32 s49, exec_lo
	v_cmpx_ne_u32_e32 0, v0
	s_xor_b32 s49, exec_lo, s49
	s_cbranch_execz .LBB0_23
; %bb.16:                               ;   in Loop: Header=BB0_12 Depth=2
	s_mov_b32 s50, exec_lo
	v_cmpx_eq_u32_e64 s38, v0
	s_cbranch_execz .LBB0_22
; %bb.17:                               ;   in Loop: Header=BB0_12 Depth=2
	s_and_b32 vcc_lo, exec_lo, s36
	s_mov_b32 s51, -1
                                        ; implicit-def: $vgpr28_vgpr29
	s_cbranch_vccz .LBB0_19
; %bb.18:                               ;   in Loop: Header=BB0_12 Depth=2
	v_add_nc_u64_e32 v[28:29], s[8:9], v[20:21]
	s_mov_b32 s51, 0
	global_load_b64 v[30:31], v[28:29], off
	global_load_b64 v[36:37], v[16:17], off
	s_wait_loadcnt 0x0
	s_wait_xcnt 0x1
	v_pk_mul_f32 v[28:29], v[36:37], v[30:31] op_sel:[1,1] op_sel_hi:[0,1]
	s_delay_alu instid0(VALU_DEP_1) | instskip(SKIP_1) | instid1(VALU_DEP_2)
	v_pk_fma_f32 v[38:39], v[36:37], v[30:31], v[28:29] op_sel_hi:[1,0,1]
	v_pk_fma_f32 v[28:29], v[36:37], v[30:31], v[28:29] neg_lo:[0,0,1] neg_hi:[0,0,1]
	v_mov_b32_e32 v29, v39
	s_delay_alu instid0(VALU_DEP_1)
	v_pk_add_f32 v[28:29], v[22:23], v[28:29]
.LBB0_19:                               ;   in Loop: Header=BB0_12 Depth=2
	s_and_not1_b32 vcc_lo, exec_lo, s51
	s_cbranch_vccnz .LBB0_21
; %bb.20:                               ;   in Loop: Header=BB0_12 Depth=2
	v_ashrrev_i32_e32 v27, 31, v26
	s_delay_alu instid0(VALU_DEP_1) | instskip(NEXT) | instid1(VALU_DEP_1)
	v_lshl_add_u64 v[28:29], v[26:27], 3, v[18:19]
	v_add_nc_u64_e32 v[28:29], s[8:9], v[28:29]
	global_load_b32 v0, v[28:29], off
	global_load_b64 v[30:31], v[16:17], off
	s_wait_loadcnt 0x0
	s_wait_xcnt 0x1
	v_pk_fma_f32 v[28:29], v[0:1], v[30:31], v[22:23] op_sel_hi:[0,1,1]
.LBB0_21:                               ;   in Loop: Header=BB0_12 Depth=2
	s_delay_alu instid0(VALU_DEP_1)
	v_mov_b64_e32 v[22:23], v[28:29]
.LBB0_22:                               ;   in Loop: Header=BB0_12 Depth=2
	s_wait_xcnt 0x0
	s_or_b32 exec_lo, exec_lo, s50
.LBB0_23:                               ;   in Loop: Header=BB0_12 Depth=2
	s_and_not1_saveexec_b32 s49, s49
	s_cbranch_execz .LBB0_29
; %bb.24:                               ;   in Loop: Header=BB0_12 Depth=2
	v_add_nc_u64_e32 v[28:29], s[8:9], v[18:19]
	s_and_not1_b32 vcc_lo, exec_lo, s45
	s_mov_b32 s50, -1
                                        ; implicit-def: $vgpr30_vgpr31
	s_cbranch_vccnz .LBB0_26
; %bb.25:                               ;   in Loop: Header=BB0_12 Depth=2
	global_load_b32 v0, v[28:29], off
	global_load_b64 v[30:31], v[16:17], off
	s_mov_b32 s50, 0
	s_wait_loadcnt 0x0
	v_pk_fma_f32 v[30:31], v[0:1], v[30:31], v[22:23] op_sel_hi:[0,1,1]
.LBB0_26:                               ;   in Loop: Header=BB0_12 Depth=2
	s_and_not1_b32 vcc_lo, exec_lo, s50
	s_cbranch_vccnz .LBB0_28
; %bb.27:                               ;   in Loop: Header=BB0_12 Depth=2
	global_load_b64 v[30:31], v[28:29], off
	global_load_b64 v[36:37], v[16:17], off
	s_wait_loadcnt 0x0
	s_wait_xcnt 0x1
	v_pk_mul_f32 v[28:29], v[36:37], v[30:31] op_sel:[1,1] op_sel_hi:[0,1]
	s_delay_alu instid0(VALU_DEP_1) | instskip(SKIP_1) | instid1(VALU_DEP_2)
	v_pk_fma_f32 v[38:39], v[36:37], v[30:31], v[28:29] op_sel_hi:[1,0,1]
	v_pk_fma_f32 v[28:29], v[36:37], v[30:31], v[28:29] neg_lo:[0,0,1] neg_hi:[0,0,1]
	v_mov_b32_e32 v29, v39
	s_delay_alu instid0(VALU_DEP_1)
	v_pk_add_f32 v[30:31], v[22:23], v[28:29]
.LBB0_28:                               ;   in Loop: Header=BB0_12 Depth=2
	s_delay_alu instid0(VALU_DEP_1)
	v_mov_b64_e32 v[22:23], v[30:31]
.LBB0_29:                               ;   in Loop: Header=BB0_12 Depth=2
	s_wait_xcnt 0x0
	s_or_b32 exec_lo, exec_lo, s49
.LBB0_30:                               ;   in Loop: Header=BB0_12 Depth=2
	s_and_not1_saveexec_b32 s5, s5
	s_cbranch_execz .LBB0_32
; %bb.31:                               ;   in Loop: Header=BB0_12 Depth=2
	v_add_nc_u64_e32 v[28:29], s[8:9], v[18:19]
	s_delay_alu instid0(VALU_DEP_1)
	v_lshl_add_u64 v[28:29], v[0:1], 3, v[28:29]
	global_load_b64 v[30:31], v[28:29], off
	global_load_b64 v[36:37], v[16:17], off
	s_wait_loadcnt 0x0
	s_wait_xcnt 0x1
	v_pk_mul_f32 v[28:29], v[36:37], v[30:31] op_sel:[1,1] op_sel_hi:[0,1]
	s_delay_alu instid0(VALU_DEP_1) | instskip(SKIP_1) | instid1(VALU_DEP_2)
	v_pk_fma_f32 v[38:39], v[36:37], v[30:31], v[28:29] op_sel_hi:[1,0,1]
	v_pk_fma_f32 v[28:29], v[36:37], v[30:31], v[28:29] neg_lo:[0,0,1] neg_hi:[0,0,1]
	v_mov_b32_e32 v29, v39
	s_delay_alu instid0(VALU_DEP_1)
	v_pk_add_f32 v[22:23], v[22:23], v[28:29]
.LBB0_32:                               ;   in Loop: Header=BB0_12 Depth=2
	s_wait_xcnt 0x0
	s_or_b32 exec_lo, exec_lo, s5
.LBB0_33:                               ;   in Loop: Header=BB0_12 Depth=2
	s_and_not1_saveexec_b32 s48, s48
	s_cbranch_execz .LBB0_10
; %bb.34:                               ;   in Loop: Header=BB0_12 Depth=2
	v_add_nc_u32_e32 v0, v5, v35
	s_delay_alu instid0(VALU_DEP_1) | instskip(SKIP_2) | instid1(SALU_CYCLE_1)
	v_cmp_ge_i32_e32 vcc_lo, s38, v0
	v_cmp_lt_i32_e64 s5, -1, v0
	s_and_b32 s49, vcc_lo, s5
	s_and_saveexec_b32 s5, s49
	s_cbranch_execz .LBB0_9
; %bb.35:                               ;   in Loop: Header=BB0_12 Depth=2
	v_lshl_add_u64 v[28:29], v[0:1], 3, v[24:25]
	global_load_b64 v[30:31], v[28:29], off
	global_load_b64 v[36:37], v[16:17], off
	s_wait_loadcnt 0x0
	s_wait_xcnt 0x1
	v_pk_mul_f32 v[28:29], v[30:31], v[36:37] op_sel:[1,1] op_sel_hi:[1,0]
	s_delay_alu instid0(VALU_DEP_1) | instskip(SKIP_1) | instid1(VALU_DEP_2)
	v_pk_fma_f32 v[38:39], v[30:31], v[36:37], v[28:29] op_sel_hi:[0,1,1] neg_lo:[0,0,1] neg_hi:[0,0,1]
	v_pk_fma_f32 v[28:29], v[30:31], v[36:37], v[28:29]
	v_mov_b32_e32 v29, v39
	s_delay_alu instid0(VALU_DEP_1)
	v_pk_add_f32 v[22:23], v[22:23], v[28:29]
	s_branch .LBB0_9
.LBB0_36:                               ;   in Loop: Header=BB0_6 Depth=1
	s_or_b32 exec_lo, exec_lo, s21
.LBB0_37:                               ;   in Loop: Header=BB0_6 Depth=1
	s_delay_alu instid0(SALU_CYCLE_1)
	s_or_b32 exec_lo, exec_lo, s20
	ds_store_b64 v3, v[22:23]
	s_wait_dscnt 0x0
	s_barrier_signal -1
	s_barrier_wait -1
.LBB0_38:                               ;   in Loop: Header=BB0_6 Depth=1
	s_and_saveexec_b32 s5, s1
	s_cbranch_execz .LBB0_5
; %bb.39:                               ;   in Loop: Header=BB0_6 Depth=1
	s_mul_u64 s[20:21], s[30:31], s[22:23]
	s_mov_b32 s47, -1
	s_lshl_b64 s[20:21], s[20:21], 3
	s_and_b32 vcc_lo, exec_lo, s44
	s_add_nc_u64 s[20:21], s[24:25], s[20:21]
	s_cbranch_vccz .LBB0_45
; %bb.40:                               ;   in Loop: Header=BB0_6 Depth=1
	s_and_saveexec_b32 s47, s4
	s_cbranch_execz .LBB0_44
; %bb.41:                               ;   in Loop: Header=BB0_6 Depth=1
	v_dual_mov_b32 v16, 0 :: v_dual_mov_b32 v17, 0
	s_and_not1_b32 vcc_lo, exec_lo, s46
	s_cbranch_vccnz .LBB0_43
; %bb.42:                               ;   in Loop: Header=BB0_6 Depth=1
	v_lshl_add_u64 v[16:17], v[8:9], 3, s[20:21]
	v_mov_b64_e32 v[18:19], s[26:27]
	v_mov_b64_e32 v[20:21], s[40:41]
	global_load_b64 v[16:17], v[16:17], off
	s_wait_loadcnt 0x0
	v_pk_mul_f32 v[18:19], v[18:19], v[16:17] op_sel:[0,1]
	s_delay_alu instid0(VALU_DEP_1) | instskip(SKIP_2) | instid1(VALU_DEP_2)
	v_pk_fma_f32 v[22:23], v[20:21], v[16:17], v[18:19] op_sel_hi:[1,0,1]
	s_wait_xcnt 0x0
	v_pk_fma_f32 v[16:17], v[20:21], v[16:17], v[18:19] neg_lo:[0,0,1] neg_hi:[0,0,1]
	v_mov_b32_e32 v17, v23
.LBB0_43:                               ;   in Loop: Header=BB0_6 Depth=1
	v_lshl_add_u64 v[18:19], v[8:9], 3, s[20:21]
	global_store_b64 v[18:19], v[16:17], off
.LBB0_44:                               ;   in Loop: Header=BB0_6 Depth=1
	s_wait_xcnt 0x0
	s_or_b32 exec_lo, exec_lo, s47
	s_mov_b32 s47, 0
.LBB0_45:                               ;   in Loop: Header=BB0_6 Depth=1
	s_delay_alu instid0(SALU_CYCLE_1)
	s_and_not1_b32 vcc_lo, exec_lo, s47
	s_cbranch_vccnz .LBB0_5
; %bb.46:                               ;   in Loop: Header=BB0_6 Depth=1
	ds_load_2addr_stride64_b64 v[16:19], v3 offset1:1
	ds_load_2addr_stride64_b64 v[20:23], v3 offset0:2 offset1:3
	ds_load_2addr_stride64_b64 v[24:27], v3 offset0:4 offset1:5
	s_wait_dscnt 0x2
	v_pk_add_f32 v[28:29], v[16:17], v[18:19]
	ds_load_2addr_stride64_b64 v[16:19], v3 offset0:6 offset1:7
	s_wait_dscnt 0x2
	v_pk_add_f32 v[20:21], v[28:29], v[20:21]
	s_delay_alu instid0(VALU_DEP_1) | instskip(SKIP_3) | instid1(VALU_DEP_1)
	v_pk_add_f32 v[28:29], v[20:21], v[22:23]
	ds_load_2addr_stride64_b64 v[20:23], v3 offset0:8 offset1:9
	s_wait_dscnt 0x2
	v_pk_add_f32 v[24:25], v[28:29], v[24:25]
	v_pk_add_f32 v[28:29], v[24:25], v[26:27]
	ds_load_2addr_stride64_b64 v[24:27], v3 offset0:10 offset1:11
	s_wait_dscnt 0x2
	v_pk_add_f32 v[16:17], v[28:29], v[16:17]
	s_delay_alu instid0(VALU_DEP_1) | instskip(SKIP_1) | instid1(VALU_DEP_1)
	v_pk_add_f32 v[16:17], v[16:17], v[18:19]
	s_wait_dscnt 0x1
	v_pk_add_f32 v[20:21], v[16:17], v[20:21]
	ds_load_2addr_stride64_b64 v[16:19], v3 offset0:12 offset1:13
	v_pk_add_f32 v[20:21], v[20:21], v[22:23]
	s_wait_dscnt 0x1
	s_delay_alu instid0(VALU_DEP_1) | instskip(SKIP_3) | instid1(VALU_DEP_1)
	v_pk_add_f32 v[24:25], v[20:21], v[24:25]
	ds_load_2addr_stride64_b64 v[20:23], v3 offset0:14 offset1:15
	v_pk_add_f32 v[24:25], v[24:25], v[26:27]
	s_wait_dscnt 0x1
	v_pk_add_f32 v[16:17], v[24:25], v[16:17]
	s_delay_alu instid0(VALU_DEP_1) | instskip(SKIP_1) | instid1(VALU_DEP_1)
	v_pk_add_f32 v[16:17], v[16:17], v[18:19]
	s_wait_dscnt 0x0
	v_pk_add_f32 v[16:17], v[16:17], v[20:21]
	s_delay_alu instid0(VALU_DEP_1)
	v_pk_add_f32 v[18:19], v[16:17], v[22:23]
	ds_store_b64 v3, v[18:19]
	s_and_b32 exec_lo, exec_lo, s4
	s_cbranch_execz .LBB0_5
; %bb.47:                               ;   in Loop: Header=BB0_6 Depth=1
	v_mov_b64_e32 v[16:17], s[42:43]
	v_mov_b64_e32 v[20:21], s[34:35]
	s_and_not1_b32 vcc_lo, exec_lo, s46
	s_delay_alu instid0(VALU_DEP_2) | instskip(NEXT) | instid1(VALU_DEP_1)
	v_pk_mul_f32 v[22:23], v[18:19], v[16:17] op_sel:[1,0]
	v_pk_fma_f32 v[16:17], v[18:19], v[20:21], v[22:23] op_sel_hi:[0,1,1] neg_lo:[0,0,1] neg_hi:[0,0,1]
	v_pk_fma_f32 v[20:21], v[18:19], v[20:21], v[22:23] op_sel_hi:[0,1,1]
	v_lshl_add_u64 v[18:19], v[8:9], 3, s[20:21]
	s_cbranch_vccnz .LBB0_4
; %bb.48:                               ;   in Loop: Header=BB0_6 Depth=1
	global_load_b64 v[22:23], v[18:19], off
	v_mov_b64_e32 v[24:25], s[26:27]
	v_mov_b64_e32 v[26:27], s[40:41]
	s_wait_loadcnt 0x0
	s_delay_alu instid0(VALU_DEP_2) | instskip(NEXT) | instid1(VALU_DEP_1)
	v_pk_mul_f32 v[24:25], v[24:25], v[22:23] op_sel:[0,1]
	v_pk_fma_f32 v[28:29], v[26:27], v[22:23], v[24:25] op_sel_hi:[1,0,1]
	v_mov_b32_e32 v17, v21
	v_pk_fma_f32 v[20:21], v[26:27], v[22:23], v[24:25] neg_lo:[0,0,1] neg_hi:[0,0,1]
	s_delay_alu instid0(VALU_DEP_3) | instskip(NEXT) | instid1(VALU_DEP_1)
	v_mov_b32_e32 v21, v29
	v_pk_add_f32 v[16:17], v[16:17], v[20:21]
	s_delay_alu instid0(VALU_DEP_1)
	v_mov_b32_e32 v21, v17
	s_branch .LBB0_4
.LBB0_49:
	s_endpgm
	.section	.rodata,"a",@progbits
	.p2align	6, 0x0
	.amdhsa_kernel _ZL20rocblas_hbmvn_kernelILi64ELi16EPK19rocblas_complex_numIfES3_PS1_EvbiiT1_T2_lllS6_lllS5_T3_llli
		.amdhsa_group_segment_fixed_size 8192
		.amdhsa_private_segment_fixed_size 0
		.amdhsa_kernarg_size 392
		.amdhsa_user_sgpr_count 2
		.amdhsa_user_sgpr_dispatch_ptr 0
		.amdhsa_user_sgpr_queue_ptr 0
		.amdhsa_user_sgpr_kernarg_segment_ptr 1
		.amdhsa_user_sgpr_dispatch_id 0
		.amdhsa_user_sgpr_kernarg_preload_length 0
		.amdhsa_user_sgpr_kernarg_preload_offset 0
		.amdhsa_user_sgpr_private_segment_size 0
		.amdhsa_wavefront_size32 1
		.amdhsa_uses_dynamic_stack 0
		.amdhsa_enable_private_segment 0
		.amdhsa_system_sgpr_workgroup_id_x 1
		.amdhsa_system_sgpr_workgroup_id_y 0
		.amdhsa_system_sgpr_workgroup_id_z 1
		.amdhsa_system_sgpr_workgroup_info 0
		.amdhsa_system_vgpr_workitem_id 1
		.amdhsa_next_free_vgpr 40
		.amdhsa_next_free_sgpr 52
		.amdhsa_named_barrier_count 0
		.amdhsa_reserve_vcc 1
		.amdhsa_float_round_mode_32 0
		.amdhsa_float_round_mode_16_64 0
		.amdhsa_float_denorm_mode_32 3
		.amdhsa_float_denorm_mode_16_64 3
		.amdhsa_fp16_overflow 0
		.amdhsa_memory_ordered 1
		.amdhsa_forward_progress 1
		.amdhsa_inst_pref_size 18
		.amdhsa_round_robin_scheduling 0
		.amdhsa_exception_fp_ieee_invalid_op 0
		.amdhsa_exception_fp_denorm_src 0
		.amdhsa_exception_fp_ieee_div_zero 0
		.amdhsa_exception_fp_ieee_overflow 0
		.amdhsa_exception_fp_ieee_underflow 0
		.amdhsa_exception_fp_ieee_inexact 0
		.amdhsa_exception_int_div_zero 0
	.end_amdhsa_kernel
	.section	.text._ZL20rocblas_hbmvn_kernelILi64ELi16EPK19rocblas_complex_numIfES3_PS1_EvbiiT1_T2_lllS6_lllS5_T3_llli,"axG",@progbits,_ZL20rocblas_hbmvn_kernelILi64ELi16EPK19rocblas_complex_numIfES3_PS1_EvbiiT1_T2_lllS6_lllS5_T3_llli,comdat
.Lfunc_end0:
	.size	_ZL20rocblas_hbmvn_kernelILi64ELi16EPK19rocblas_complex_numIfES3_PS1_EvbiiT1_T2_lllS6_lllS5_T3_llli, .Lfunc_end0-_ZL20rocblas_hbmvn_kernelILi64ELi16EPK19rocblas_complex_numIfES3_PS1_EvbiiT1_T2_lllS6_lllS5_T3_llli
                                        ; -- End function
	.set _ZL20rocblas_hbmvn_kernelILi64ELi16EPK19rocblas_complex_numIfES3_PS1_EvbiiT1_T2_lllS6_lllS5_T3_llli.num_vgpr, 40
	.set _ZL20rocblas_hbmvn_kernelILi64ELi16EPK19rocblas_complex_numIfES3_PS1_EvbiiT1_T2_lllS6_lllS5_T3_llli.num_agpr, 0
	.set _ZL20rocblas_hbmvn_kernelILi64ELi16EPK19rocblas_complex_numIfES3_PS1_EvbiiT1_T2_lllS6_lllS5_T3_llli.numbered_sgpr, 52
	.set _ZL20rocblas_hbmvn_kernelILi64ELi16EPK19rocblas_complex_numIfES3_PS1_EvbiiT1_T2_lllS6_lllS5_T3_llli.num_named_barrier, 0
	.set _ZL20rocblas_hbmvn_kernelILi64ELi16EPK19rocblas_complex_numIfES3_PS1_EvbiiT1_T2_lllS6_lllS5_T3_llli.private_seg_size, 0
	.set _ZL20rocblas_hbmvn_kernelILi64ELi16EPK19rocblas_complex_numIfES3_PS1_EvbiiT1_T2_lllS6_lllS5_T3_llli.uses_vcc, 1
	.set _ZL20rocblas_hbmvn_kernelILi64ELi16EPK19rocblas_complex_numIfES3_PS1_EvbiiT1_T2_lllS6_lllS5_T3_llli.uses_flat_scratch, 0
	.set _ZL20rocblas_hbmvn_kernelILi64ELi16EPK19rocblas_complex_numIfES3_PS1_EvbiiT1_T2_lllS6_lllS5_T3_llli.has_dyn_sized_stack, 0
	.set _ZL20rocblas_hbmvn_kernelILi64ELi16EPK19rocblas_complex_numIfES3_PS1_EvbiiT1_T2_lllS6_lllS5_T3_llli.has_recursion, 0
	.set _ZL20rocblas_hbmvn_kernelILi64ELi16EPK19rocblas_complex_numIfES3_PS1_EvbiiT1_T2_lllS6_lllS5_T3_llli.has_indirect_call, 0
	.section	.AMDGPU.csdata,"",@progbits
; Kernel info:
; codeLenInByte = 2200
; TotalNumSgprs: 54
; NumVgprs: 40
; ScratchSize: 0
; MemoryBound: 0
; FloatMode: 240
; IeeeMode: 1
; LDSByteSize: 8192 bytes/workgroup (compile time only)
; SGPRBlocks: 0
; VGPRBlocks: 2
; NumSGPRsForWavesPerEU: 54
; NumVGPRsForWavesPerEU: 40
; NamedBarCnt: 0
; Occupancy: 16
; WaveLimiterHint : 0
; COMPUTE_PGM_RSRC2:SCRATCH_EN: 0
; COMPUTE_PGM_RSRC2:USER_SGPR: 2
; COMPUTE_PGM_RSRC2:TRAP_HANDLER: 0
; COMPUTE_PGM_RSRC2:TGID_X_EN: 1
; COMPUTE_PGM_RSRC2:TGID_Y_EN: 0
; COMPUTE_PGM_RSRC2:TGID_Z_EN: 1
; COMPUTE_PGM_RSRC2:TIDIG_COMP_CNT: 1
	.section	.text._ZL20rocblas_hbmvn_kernelILi64ELi16E19rocblas_complex_numIfEPKS1_PS1_EvbiiT1_T2_lllS6_lllS5_T3_llli,"axG",@progbits,_ZL20rocblas_hbmvn_kernelILi64ELi16E19rocblas_complex_numIfEPKS1_PS1_EvbiiT1_T2_lllS6_lllS5_T3_llli,comdat
	.globl	_ZL20rocblas_hbmvn_kernelILi64ELi16E19rocblas_complex_numIfEPKS1_PS1_EvbiiT1_T2_lllS6_lllS5_T3_llli ; -- Begin function _ZL20rocblas_hbmvn_kernelILi64ELi16E19rocblas_complex_numIfEPKS1_PS1_EvbiiT1_T2_lllS6_lllS5_T3_llli
	.p2align	8
	.type	_ZL20rocblas_hbmvn_kernelILi64ELi16E19rocblas_complex_numIfEPKS1_PS1_EvbiiT1_T2_lllS6_lllS5_T3_llli,@function
_ZL20rocblas_hbmvn_kernelILi64ELi16E19rocblas_complex_numIfEPKS1_PS1_EvbiiT1_T2_lllS6_lllS5_T3_llli: ; @_ZL20rocblas_hbmvn_kernelILi64ELi16E19rocblas_complex_numIfEPKS1_PS1_EvbiiT1_T2_lllS6_lllS5_T3_llli
; %bb.0:
	s_load_b64 s[2:3], s[0:1], 0x94
	s_wait_kmcnt 0x0
	s_lshr_b32 s4, s2, 16
	s_and_b32 s2, s2, 0xffff
	s_and_b32 s3, s3, 0xffff
	s_mul_i32 s4, s4, s2
	s_delay_alu instid0(SALU_CYCLE_1) | instskip(NEXT) | instid1(SALU_CYCLE_1)
	s_mul_i32 s4, s4, s3
	s_cmp_lg_u32 s4, 0x400
	s_cbranch_scc1 .LBB1_49
; %bb.1:
	s_clause 0x2
	s_load_b128 s[36:39], s[0:1], 0x0
	s_load_b32 s7, s[0:1], 0x10
	s_load_b64 s[34:35], s[0:1], 0x58
	s_wait_kmcnt 0x0
	s_cmp_eq_f32 s39, 0
	s_cselect_b32 s3, -1, 0
	s_cmp_eq_f32 s7, 0
	s_cselect_b32 s4, -1, 0
	s_delay_alu instid0(SALU_CYCLE_1) | instskip(SKIP_4) | instid1(SALU_CYCLE_1)
	s_and_b32 s3, s3, s4
	s_cmp_eq_f32 s34, 1.0
	s_cselect_b32 s4, -1, 0
	s_cmp_eq_f32 s35, 0
	s_cselect_b32 s5, -1, 0
	s_and_b32 s4, s4, s5
	s_delay_alu instid0(SALU_CYCLE_1) | instskip(NEXT) | instid1(SALU_CYCLE_1)
	s_and_b32 s3, s3, s4
	s_and_b32 vcc_lo, exec_lo, s3
	s_cbranch_vccnz .LBB1_49
; %bb.2:
	s_load_b32 s33, s[0:1], 0x80
	s_bfe_u32 s3, ttmp6, 0x40014
	s_lshr_b32 s4, ttmp7, 16
	s_add_co_i32 s3, s3, 1
	s_bfe_u32 s6, ttmp6, 0x40008
	s_mul_i32 s5, s4, s3
	s_getreg_b32 s3, hwreg(HW_REG_IB_STS2, 6, 4)
	s_add_co_i32 s6, s6, s5
	s_cmp_eq_u32 s3, 0
	s_cselect_b32 s40, s4, s6
	s_wait_kmcnt 0x0
	s_cmp_ge_u32 s40, s33
	s_cbranch_scc1 .LBB1_49
; %bb.3:
	s_clause 0x1
	s_load_b512 s[8:23], s[0:1], 0x18
	s_load_b256 s[24:31], s[0:1], 0x60
	v_and_b32_e32 v2, 0x3ff, v0
	v_bfe_u32 v0, v0, 10, 10
	s_mov_b32 s6, s39
	s_mov_b32 s41, 0
	;; [unrolled: 1-line block ×3, first 2 shown]
	s_delay_alu instid0(VALU_DEP_1) | instskip(NEXT) | instid1(VALU_DEP_1)
	v_mad_u32_u24 v0, v0, s2, v2
	v_dual_mov_b32 v1, 0 :: v_dual_lshrrev_b32 v2, 6, v0
	s_delay_alu instid0(VALU_DEP_1)
	v_dual_mov_b32 v3, v1 :: v_dual_bitop2_b32 v18, 63, v0 bitop3:0x40
	s_wait_kmcnt 0x0
	s_lshl_b64 s[10:11], s[10:11], 3
	s_lshl_b64 s[4:5], s[26:27], 3
	s_bitcmp1_b32 s36, 0
	v_mul_u64_e32 v[14:15], s[20:21], v[2:3]
	s_cselect_b32 s0, -1, 0
	v_mul_u64_e32 v[10:11], s[12:13], v[2:3]
	s_and_b32 s1, s0, exec_lo
	s_cselect_b32 s1, s38, 0
	s_or_b32 s36, s39, s7
	s_add_nc_u64 s[24:25], s[24:25], s[4:5]
	s_and_b32 s42, s36, 0x7fffffff
	s_xor_b32 s36, s0, -1
	s_cmp_lg_u32 s42, 0
	s_mov_b32 s26, s35
	s_cselect_b32 s44, -1, 0
	s_cmp_eq_u32 s42, 0
	s_mov_b32 s27, s34
	s_cselect_b32 s45, -1, 0
	s_bfe_u32 s2, ttmp6, 0x4000c
	s_and_b32 s42, ttmp6, 15
	s_add_co_i32 s2, s2, 1
	s_delay_alu instid0(SALU_CYCLE_1) | instskip(NEXT) | instid1(SALU_CYCLE_1)
	s_mul_i32 s2, ttmp9, s2
	s_add_co_i32 s42, s42, s2
	s_cmp_eq_u32 s3, 0
	s_cselect_b32 s2, ttmp9, s42
	s_mov_b32 s42, s7
	s_lshl_b32 s47, s2, 6
	s_cmp_eq_u32 s38, 0
	v_dual_add_nc_u32 v12, s47, v0 :: v_dual_bitop2_b32 v4, s47, v18 bitop3:0x54
	s_cselect_b32 s2, -1, 0
	v_lshlrev_b32_e32 v3, 3, v0
	s_or_b32 s46, s36, s2
	s_cmp_neq_f32 s34, 0
	v_ashrrev_i32_e32 v5, 31, v4
	v_ashrrev_i32_e32 v13, 31, v12
	v_cmp_gt_i32_e64 s4, s37, v12
	s_cselect_b32 s50, -1, 0
	s_cmp_neq_f32 s35, 0
	v_lshlrev_b64_e32 v[16:17], 3, v[4:5]
	v_mul_u64_e32 v[6:7], s[12:13], v[4:5]
	v_sub_nc_u32_e32 v5, s1, v18
	s_cselect_b32 s51, -1, 0
	s_lshl_b64 s[2:3], s[12:13], 3
	v_mul_u64_e32 v[8:9], s[28:29], v[12:13]
	s_add_nc_u64 s[48:49], s[2:3], -8
	v_cmp_gt_u32_e64 s1, 64, v0
	v_mad_nc_u64_u32 v[16:17], v2, s48, v[16:17]
	v_add3_u32 v0, s38, s47, v18
	v_cmp_gt_i32_e64 s2, s37, v2
	v_subrev_nc_u32_e32 v5, s47, v5
	v_cmp_gt_i32_e64 s3, s37, v4
	v_lshl_add_u64 v[10:11], v[10:11], 3, s[8:9]
	v_sub_nc_u32_e32 v32, v0, v2
	v_sub_nc_u32_e32 v33, v4, v2
	s_lshl_b64 s[12:13], s[12:13], 7
	s_add_nc_u64 s[28:29], s[8:9], s[10:11]
	s_lshl_b64 s[20:21], s[20:21], 7
	v_mad_u32 v17, v2, s49, v17
	s_lshl_b64 s[48:49], s[18:19], 3
	s_lshl_b64 s[18:19], s[22:23], 3
	s_add_nc_u64 s[16:17], s[16:17], s[48:49]
	s_or_b32 s39, s50, s51
	v_lshl_add_u64 v[12:13], v[14:15], 3, s[16:17]
	s_mov_b64 s[16:17], 0xffffffffffffff80
	s_delay_alu instid0(SALU_CYCLE_1) | instskip(NEXT) | instid1(VALU_DEP_2)
	s_add_nc_u64 s[16:17], s[12:13], s[16:17]
	v_add_nc_u64_e32 v[14:15], s[8:9], v[16:17]
	s_lshl_b64 s[8:9], s[14:15], 3
	s_branch .LBB1_6
.LBB1_4:                                ;   in Loop: Header=BB1_6 Depth=1
	s_delay_alu instid0(VALU_DEP_1)
	v_mov_b32_e32 v17, v21
	global_store_b64 v[18:19], v[16:17], off
.LBB1_5:                                ;   in Loop: Header=BB1_6 Depth=1
	s_wait_xcnt 0x0
	s_or_b32 exec_lo, exec_lo, s5
	s_add_co_i32 s40, s40, 0x10000
	s_delay_alu instid0(SALU_CYCLE_1)
	s_cmp_lt_u32 s40, s33
	s_cbranch_scc0 .LBB1_49
.LBB1_6:                                ; =>This Loop Header: Depth=1
                                        ;     Child Loop BB1_12 Depth 2
	s_and_not1_b32 vcc_lo, exec_lo, s44
	s_cbranch_vccnz .LBB1_38
; %bb.7:                                ;   in Loop: Header=BB1_6 Depth=1
	v_dual_mov_b32 v23, 0 :: v_dual_mov_b32 v22, 0
	s_and_saveexec_b32 s22, s2
	s_cbranch_execz .LBB1_37
; %bb.8:                                ;   in Loop: Header=BB1_6 Depth=1
	v_mad_nc_u64_u32 v[16:17], s18, s40, v[12:13]
	v_mad_nc_u64_u32 v[18:19], s8, s40, v[10:11]
	;; [unrolled: 1-line block ×3, first 2 shown]
	s_mul_u64 s[48:49], s[14:15], s[40:41]
	s_mul_i32 s5, s9, s40
	s_lshl_b64 s[48:49], s[48:49], 3
	v_mov_b64_e32 v[22:23], 0
	s_add_nc_u64 s[48:49], s[28:29], s[48:49]
	v_dual_mov_b32 v34, v33 :: v_dual_mov_b32 v26, v32
	v_lshl_add_u64 v[24:25], v[6:7], 3, s[48:49]
	v_mad_u32 v17, s19, s40, v17
	v_dual_add_nc_u32 v19, s5, v19 :: v_dual_add_nc_u32 v21, s5, v21
	v_mov_b32_e32 v35, v2
	s_mov_b32 s23, 0
	s_branch .LBB1_12
.LBB1_9:                                ;   in Loop: Header=BB1_12 Depth=2
	s_wait_xcnt 0x0
	s_or_b32 exec_lo, exec_lo, s5
.LBB1_10:                               ;   in Loop: Header=BB1_12 Depth=2
	s_delay_alu instid0(SALU_CYCLE_1)
	s_or_b32 exec_lo, exec_lo, s48
.LBB1_11:                               ;   in Loop: Header=BB1_12 Depth=2
	s_delay_alu instid0(SALU_CYCLE_1) | instskip(SKIP_1) | instid1(VALU_DEP_4)
	s_or_b32 exec_lo, exec_lo, s47
	v_dual_add_nc_u32 v35, 16, v35 :: v_dual_add_nc_u32 v26, -16, v26
	v_add_nc_u64_e32 v[16:17], s[20:21], v[16:17]
	v_add_nc_u64_e32 v[18:19], s[12:13], v[18:19]
	v_add_nc_u64_e32 v[20:21], s[16:17], v[20:21]
	s_delay_alu instid0(VALU_DEP_4) | instskip(SKIP_2) | instid1(SALU_CYCLE_1)
	v_cmp_le_i32_e32 vcc_lo, s37, v35
	v_add_nc_u32_e32 v34, -16, v34
	s_or_b32 s23, vcc_lo, s23
	s_and_not1_b32 exec_lo, exec_lo, s23
	s_cbranch_execz .LBB1_36
.LBB1_12:                               ;   Parent Loop BB1_6 Depth=1
                                        ; =>  This Inner Loop Header: Depth=2
	s_and_saveexec_b32 s47, s3
	s_cbranch_execz .LBB1_11
; %bb.13:                               ;   in Loop: Header=BB1_12 Depth=2
	v_cmp_gt_i32_e32 vcc_lo, v4, v35
	v_cndmask_b32_e64 v0, 0, 1, vcc_lo
	v_cmp_lt_i32_e32 vcc_lo, v4, v35
	v_cndmask_b32_e64 v27, 0, 1, vcc_lo
	s_delay_alu instid0(VALU_DEP_1) | instskip(NEXT) | instid1(VALU_DEP_1)
	v_cndmask_b32_e64 v0, v27, v0, s0
	v_and_b32_e32 v0, 1, v0
	s_delay_alu instid0(VALU_DEP_1) | instskip(SKIP_1) | instid1(SALU_CYCLE_1)
	v_cmp_eq_u32_e32 vcc_lo, 1, v0
	s_xor_b32 s5, vcc_lo, -1
	s_and_saveexec_b32 s48, s5
	s_delay_alu instid0(SALU_CYCLE_1)
	s_xor_b32 s48, exec_lo, s48
	s_cbranch_execz .LBB1_33
; %bb.14:                               ;   in Loop: Header=BB1_12 Depth=2
	v_add_nc_u32_e32 v0, s38, v34
	s_delay_alu instid0(VALU_DEP_1) | instskip(NEXT) | instid1(VALU_DEP_1)
	v_cndmask_b32_e64 v0, v34, v0, s0
	v_cmp_le_i32_e32 vcc_lo, s38, v0
	v_cmp_gt_i32_e64 s5, 1, v0
	s_or_b32 s5, vcc_lo, s5
	s_delay_alu instid0(SALU_CYCLE_1) | instskip(NEXT) | instid1(SALU_CYCLE_1)
	s_and_saveexec_b32 s49, s5
	s_xor_b32 s5, exec_lo, s49
	s_cbranch_execz .LBB1_30
; %bb.15:                               ;   in Loop: Header=BB1_12 Depth=2
	s_mov_b32 s49, exec_lo
	v_cmpx_ne_u32_e32 0, v0
	s_xor_b32 s49, exec_lo, s49
	s_cbranch_execz .LBB1_23
; %bb.16:                               ;   in Loop: Header=BB1_12 Depth=2
	s_mov_b32 s50, exec_lo
	v_cmpx_eq_u32_e64 s38, v0
	s_cbranch_execz .LBB1_22
; %bb.17:                               ;   in Loop: Header=BB1_12 Depth=2
	s_and_b32 vcc_lo, exec_lo, s36
	s_mov_b32 s51, -1
                                        ; implicit-def: $vgpr28_vgpr29
	s_cbranch_vccz .LBB1_19
; %bb.18:                               ;   in Loop: Header=BB1_12 Depth=2
	v_add_nc_u64_e32 v[28:29], s[10:11], v[20:21]
	s_mov_b32 s51, 0
	global_load_b64 v[30:31], v[28:29], off
	global_load_b64 v[36:37], v[16:17], off
	s_wait_loadcnt 0x0
	s_wait_xcnt 0x1
	v_pk_mul_f32 v[28:29], v[36:37], v[30:31] op_sel:[1,1] op_sel_hi:[0,1]
	s_delay_alu instid0(VALU_DEP_1) | instskip(SKIP_1) | instid1(VALU_DEP_2)
	v_pk_fma_f32 v[38:39], v[36:37], v[30:31], v[28:29] op_sel_hi:[1,0,1]
	v_pk_fma_f32 v[28:29], v[36:37], v[30:31], v[28:29] neg_lo:[0,0,1] neg_hi:[0,0,1]
	v_mov_b32_e32 v29, v39
	s_delay_alu instid0(VALU_DEP_1)
	v_pk_add_f32 v[28:29], v[22:23], v[28:29]
.LBB1_19:                               ;   in Loop: Header=BB1_12 Depth=2
	s_and_not1_b32 vcc_lo, exec_lo, s51
	s_cbranch_vccnz .LBB1_21
; %bb.20:                               ;   in Loop: Header=BB1_12 Depth=2
	v_ashrrev_i32_e32 v27, 31, v26
	s_delay_alu instid0(VALU_DEP_1) | instskip(NEXT) | instid1(VALU_DEP_1)
	v_lshl_add_u64 v[28:29], v[26:27], 3, v[18:19]
	v_add_nc_u64_e32 v[28:29], s[10:11], v[28:29]
	global_load_b32 v0, v[28:29], off
	global_load_b64 v[30:31], v[16:17], off
	s_wait_loadcnt 0x0
	s_wait_xcnt 0x1
	v_pk_fma_f32 v[28:29], v[0:1], v[30:31], v[22:23] op_sel_hi:[0,1,1]
.LBB1_21:                               ;   in Loop: Header=BB1_12 Depth=2
	s_delay_alu instid0(VALU_DEP_1)
	v_mov_b64_e32 v[22:23], v[28:29]
.LBB1_22:                               ;   in Loop: Header=BB1_12 Depth=2
	s_wait_xcnt 0x0
	s_or_b32 exec_lo, exec_lo, s50
.LBB1_23:                               ;   in Loop: Header=BB1_12 Depth=2
	s_and_not1_saveexec_b32 s49, s49
	s_cbranch_execz .LBB1_29
; %bb.24:                               ;   in Loop: Header=BB1_12 Depth=2
	v_add_nc_u64_e32 v[28:29], s[10:11], v[18:19]
	s_and_not1_b32 vcc_lo, exec_lo, s46
	s_mov_b32 s50, -1
                                        ; implicit-def: $vgpr30_vgpr31
	s_cbranch_vccnz .LBB1_26
; %bb.25:                               ;   in Loop: Header=BB1_12 Depth=2
	global_load_b32 v0, v[28:29], off
	global_load_b64 v[30:31], v[16:17], off
	s_mov_b32 s50, 0
	s_wait_loadcnt 0x0
	v_pk_fma_f32 v[30:31], v[0:1], v[30:31], v[22:23] op_sel_hi:[0,1,1]
.LBB1_26:                               ;   in Loop: Header=BB1_12 Depth=2
	s_and_not1_b32 vcc_lo, exec_lo, s50
	s_cbranch_vccnz .LBB1_28
; %bb.27:                               ;   in Loop: Header=BB1_12 Depth=2
	global_load_b64 v[30:31], v[28:29], off
	global_load_b64 v[36:37], v[16:17], off
	s_wait_loadcnt 0x0
	s_wait_xcnt 0x1
	v_pk_mul_f32 v[28:29], v[36:37], v[30:31] op_sel:[1,1] op_sel_hi:[0,1]
	s_delay_alu instid0(VALU_DEP_1) | instskip(SKIP_1) | instid1(VALU_DEP_2)
	v_pk_fma_f32 v[38:39], v[36:37], v[30:31], v[28:29] op_sel_hi:[1,0,1]
	v_pk_fma_f32 v[28:29], v[36:37], v[30:31], v[28:29] neg_lo:[0,0,1] neg_hi:[0,0,1]
	v_mov_b32_e32 v29, v39
	s_delay_alu instid0(VALU_DEP_1)
	v_pk_add_f32 v[30:31], v[22:23], v[28:29]
.LBB1_28:                               ;   in Loop: Header=BB1_12 Depth=2
	s_delay_alu instid0(VALU_DEP_1)
	v_mov_b64_e32 v[22:23], v[30:31]
.LBB1_29:                               ;   in Loop: Header=BB1_12 Depth=2
	s_wait_xcnt 0x0
	s_or_b32 exec_lo, exec_lo, s49
.LBB1_30:                               ;   in Loop: Header=BB1_12 Depth=2
	s_and_not1_saveexec_b32 s5, s5
	s_cbranch_execz .LBB1_32
; %bb.31:                               ;   in Loop: Header=BB1_12 Depth=2
	v_add_nc_u64_e32 v[28:29], s[10:11], v[18:19]
	s_delay_alu instid0(VALU_DEP_1)
	v_lshl_add_u64 v[28:29], v[0:1], 3, v[28:29]
	global_load_b64 v[30:31], v[28:29], off
	global_load_b64 v[36:37], v[16:17], off
	s_wait_loadcnt 0x0
	s_wait_xcnt 0x1
	v_pk_mul_f32 v[28:29], v[36:37], v[30:31] op_sel:[1,1] op_sel_hi:[0,1]
	s_delay_alu instid0(VALU_DEP_1) | instskip(SKIP_1) | instid1(VALU_DEP_2)
	v_pk_fma_f32 v[38:39], v[36:37], v[30:31], v[28:29] op_sel_hi:[1,0,1]
	v_pk_fma_f32 v[28:29], v[36:37], v[30:31], v[28:29] neg_lo:[0,0,1] neg_hi:[0,0,1]
	v_mov_b32_e32 v29, v39
	s_delay_alu instid0(VALU_DEP_1)
	v_pk_add_f32 v[22:23], v[22:23], v[28:29]
.LBB1_32:                               ;   in Loop: Header=BB1_12 Depth=2
	s_wait_xcnt 0x0
	s_or_b32 exec_lo, exec_lo, s5
.LBB1_33:                               ;   in Loop: Header=BB1_12 Depth=2
	s_and_not1_saveexec_b32 s48, s48
	s_cbranch_execz .LBB1_10
; %bb.34:                               ;   in Loop: Header=BB1_12 Depth=2
	v_add_nc_u32_e32 v0, v5, v35
	s_delay_alu instid0(VALU_DEP_1) | instskip(SKIP_2) | instid1(SALU_CYCLE_1)
	v_cmp_ge_i32_e32 vcc_lo, s38, v0
	v_cmp_lt_i32_e64 s5, -1, v0
	s_and_b32 s49, vcc_lo, s5
	s_and_saveexec_b32 s5, s49
	s_cbranch_execz .LBB1_9
; %bb.35:                               ;   in Loop: Header=BB1_12 Depth=2
	v_lshl_add_u64 v[28:29], v[0:1], 3, v[24:25]
	global_load_b64 v[30:31], v[28:29], off
	global_load_b64 v[36:37], v[16:17], off
	s_wait_loadcnt 0x0
	s_wait_xcnt 0x1
	v_pk_mul_f32 v[28:29], v[30:31], v[36:37] op_sel:[1,1] op_sel_hi:[1,0]
	s_delay_alu instid0(VALU_DEP_1) | instskip(SKIP_1) | instid1(VALU_DEP_2)
	v_pk_fma_f32 v[38:39], v[30:31], v[36:37], v[28:29] op_sel_hi:[0,1,1] neg_lo:[0,0,1] neg_hi:[0,0,1]
	v_pk_fma_f32 v[28:29], v[30:31], v[36:37], v[28:29]
	v_mov_b32_e32 v29, v39
	s_delay_alu instid0(VALU_DEP_1)
	v_pk_add_f32 v[22:23], v[22:23], v[28:29]
	s_branch .LBB1_9
.LBB1_36:                               ;   in Loop: Header=BB1_6 Depth=1
	s_or_b32 exec_lo, exec_lo, s23
.LBB1_37:                               ;   in Loop: Header=BB1_6 Depth=1
	s_delay_alu instid0(SALU_CYCLE_1)
	s_or_b32 exec_lo, exec_lo, s22
	ds_store_b64 v3, v[22:23]
	s_wait_dscnt 0x0
	s_barrier_signal -1
	s_barrier_wait -1
.LBB1_38:                               ;   in Loop: Header=BB1_6 Depth=1
	s_and_saveexec_b32 s5, s1
	s_cbranch_execz .LBB1_5
; %bb.39:                               ;   in Loop: Header=BB1_6 Depth=1
	s_mul_u64 s[22:23], s[30:31], s[40:41]
	s_mov_b32 s47, -1
	s_lshl_b64 s[22:23], s[22:23], 3
	s_and_b32 vcc_lo, exec_lo, s45
	s_add_nc_u64 s[22:23], s[24:25], s[22:23]
	s_cbranch_vccz .LBB1_45
; %bb.40:                               ;   in Loop: Header=BB1_6 Depth=1
	s_and_saveexec_b32 s47, s4
	s_cbranch_execz .LBB1_44
; %bb.41:                               ;   in Loop: Header=BB1_6 Depth=1
	v_dual_mov_b32 v16, 0 :: v_dual_mov_b32 v17, 0
	s_and_not1_b32 vcc_lo, exec_lo, s39
	s_cbranch_vccnz .LBB1_43
; %bb.42:                               ;   in Loop: Header=BB1_6 Depth=1
	v_lshl_add_u64 v[16:17], v[8:9], 3, s[22:23]
	v_mov_b64_e32 v[18:19], s[26:27]
	v_mov_b64_e32 v[20:21], s[34:35]
	global_load_b64 v[16:17], v[16:17], off
	s_wait_loadcnt 0x0
	v_pk_mul_f32 v[18:19], v[18:19], v[16:17] op_sel:[0,1]
	s_delay_alu instid0(VALU_DEP_1) | instskip(SKIP_2) | instid1(VALU_DEP_2)
	v_pk_fma_f32 v[22:23], v[20:21], v[16:17], v[18:19] op_sel_hi:[1,0,1]
	s_wait_xcnt 0x0
	v_pk_fma_f32 v[16:17], v[20:21], v[16:17], v[18:19] neg_lo:[0,0,1] neg_hi:[0,0,1]
	v_mov_b32_e32 v17, v23
.LBB1_43:                               ;   in Loop: Header=BB1_6 Depth=1
	v_lshl_add_u64 v[18:19], v[8:9], 3, s[22:23]
	global_store_b64 v[18:19], v[16:17], off
.LBB1_44:                               ;   in Loop: Header=BB1_6 Depth=1
	s_wait_xcnt 0x0
	s_or_b32 exec_lo, exec_lo, s47
	s_mov_b32 s47, 0
.LBB1_45:                               ;   in Loop: Header=BB1_6 Depth=1
	s_delay_alu instid0(SALU_CYCLE_1)
	s_and_not1_b32 vcc_lo, exec_lo, s47
	s_cbranch_vccnz .LBB1_5
; %bb.46:                               ;   in Loop: Header=BB1_6 Depth=1
	ds_load_2addr_stride64_b64 v[16:19], v3 offset1:1
	ds_load_2addr_stride64_b64 v[20:23], v3 offset0:2 offset1:3
	ds_load_2addr_stride64_b64 v[24:27], v3 offset0:4 offset1:5
	s_wait_dscnt 0x2
	v_pk_add_f32 v[28:29], v[16:17], v[18:19]
	ds_load_2addr_stride64_b64 v[16:19], v3 offset0:6 offset1:7
	s_wait_dscnt 0x2
	v_pk_add_f32 v[20:21], v[28:29], v[20:21]
	s_delay_alu instid0(VALU_DEP_1) | instskip(SKIP_3) | instid1(VALU_DEP_1)
	v_pk_add_f32 v[28:29], v[20:21], v[22:23]
	ds_load_2addr_stride64_b64 v[20:23], v3 offset0:8 offset1:9
	s_wait_dscnt 0x2
	v_pk_add_f32 v[24:25], v[28:29], v[24:25]
	v_pk_add_f32 v[28:29], v[24:25], v[26:27]
	ds_load_2addr_stride64_b64 v[24:27], v3 offset0:10 offset1:11
	s_wait_dscnt 0x2
	v_pk_add_f32 v[16:17], v[28:29], v[16:17]
	s_delay_alu instid0(VALU_DEP_1) | instskip(SKIP_1) | instid1(VALU_DEP_1)
	v_pk_add_f32 v[16:17], v[16:17], v[18:19]
	s_wait_dscnt 0x1
	v_pk_add_f32 v[20:21], v[16:17], v[20:21]
	ds_load_2addr_stride64_b64 v[16:19], v3 offset0:12 offset1:13
	v_pk_add_f32 v[20:21], v[20:21], v[22:23]
	s_wait_dscnt 0x1
	s_delay_alu instid0(VALU_DEP_1) | instskip(SKIP_3) | instid1(VALU_DEP_1)
	v_pk_add_f32 v[24:25], v[20:21], v[24:25]
	ds_load_2addr_stride64_b64 v[20:23], v3 offset0:14 offset1:15
	v_pk_add_f32 v[24:25], v[24:25], v[26:27]
	s_wait_dscnt 0x1
	v_pk_add_f32 v[16:17], v[24:25], v[16:17]
	s_delay_alu instid0(VALU_DEP_1) | instskip(SKIP_1) | instid1(VALU_DEP_1)
	v_pk_add_f32 v[16:17], v[16:17], v[18:19]
	s_wait_dscnt 0x0
	v_pk_add_f32 v[16:17], v[16:17], v[20:21]
	s_delay_alu instid0(VALU_DEP_1)
	v_pk_add_f32 v[18:19], v[16:17], v[22:23]
	ds_store_b64 v3, v[18:19]
	s_and_b32 exec_lo, exec_lo, s4
	s_cbranch_execz .LBB1_5
; %bb.47:                               ;   in Loop: Header=BB1_6 Depth=1
	v_mov_b64_e32 v[16:17], s[42:43]
	v_mov_b64_e32 v[20:21], s[6:7]
	s_and_not1_b32 vcc_lo, exec_lo, s39
	s_delay_alu instid0(VALU_DEP_2) | instskip(NEXT) | instid1(VALU_DEP_1)
	v_pk_mul_f32 v[22:23], v[18:19], v[16:17] op_sel:[1,0]
	v_pk_fma_f32 v[16:17], v[18:19], v[20:21], v[22:23] op_sel_hi:[0,1,1] neg_lo:[0,0,1] neg_hi:[0,0,1]
	v_pk_fma_f32 v[20:21], v[18:19], v[20:21], v[22:23] op_sel_hi:[0,1,1]
	v_lshl_add_u64 v[18:19], v[8:9], 3, s[22:23]
	s_cbranch_vccnz .LBB1_4
; %bb.48:                               ;   in Loop: Header=BB1_6 Depth=1
	global_load_b64 v[22:23], v[18:19], off
	v_mov_b64_e32 v[24:25], s[26:27]
	v_mov_b64_e32 v[26:27], s[34:35]
	s_wait_loadcnt 0x0
	s_delay_alu instid0(VALU_DEP_2) | instskip(NEXT) | instid1(VALU_DEP_1)
	v_pk_mul_f32 v[24:25], v[24:25], v[22:23] op_sel:[0,1]
	v_pk_fma_f32 v[28:29], v[26:27], v[22:23], v[24:25] op_sel_hi:[1,0,1]
	v_mov_b32_e32 v17, v21
	v_pk_fma_f32 v[20:21], v[26:27], v[22:23], v[24:25] neg_lo:[0,0,1] neg_hi:[0,0,1]
	s_delay_alu instid0(VALU_DEP_3) | instskip(NEXT) | instid1(VALU_DEP_1)
	v_mov_b32_e32 v21, v29
	v_pk_add_f32 v[16:17], v[16:17], v[20:21]
	s_delay_alu instid0(VALU_DEP_1)
	v_mov_b32_e32 v21, v17
	s_branch .LBB1_4
.LBB1_49:
	s_endpgm
	.section	.rodata,"a",@progbits
	.p2align	6, 0x0
	.amdhsa_kernel _ZL20rocblas_hbmvn_kernelILi64ELi16E19rocblas_complex_numIfEPKS1_PS1_EvbiiT1_T2_lllS6_lllS5_T3_llli
		.amdhsa_group_segment_fixed_size 8192
		.amdhsa_private_segment_fixed_size 0
		.amdhsa_kernarg_size 392
		.amdhsa_user_sgpr_count 2
		.amdhsa_user_sgpr_dispatch_ptr 0
		.amdhsa_user_sgpr_queue_ptr 0
		.amdhsa_user_sgpr_kernarg_segment_ptr 1
		.amdhsa_user_sgpr_dispatch_id 0
		.amdhsa_user_sgpr_kernarg_preload_length 0
		.amdhsa_user_sgpr_kernarg_preload_offset 0
		.amdhsa_user_sgpr_private_segment_size 0
		.amdhsa_wavefront_size32 1
		.amdhsa_uses_dynamic_stack 0
		.amdhsa_enable_private_segment 0
		.amdhsa_system_sgpr_workgroup_id_x 1
		.amdhsa_system_sgpr_workgroup_id_y 0
		.amdhsa_system_sgpr_workgroup_id_z 1
		.amdhsa_system_sgpr_workgroup_info 0
		.amdhsa_system_vgpr_workitem_id 1
		.amdhsa_next_free_vgpr 40
		.amdhsa_next_free_sgpr 52
		.amdhsa_named_barrier_count 0
		.amdhsa_reserve_vcc 1
		.amdhsa_float_round_mode_32 0
		.amdhsa_float_round_mode_16_64 0
		.amdhsa_float_denorm_mode_32 3
		.amdhsa_float_denorm_mode_16_64 3
		.amdhsa_fp16_overflow 0
		.amdhsa_memory_ordered 1
		.amdhsa_forward_progress 1
		.amdhsa_inst_pref_size 18
		.amdhsa_round_robin_scheduling 0
		.amdhsa_exception_fp_ieee_invalid_op 0
		.amdhsa_exception_fp_denorm_src 0
		.amdhsa_exception_fp_ieee_div_zero 0
		.amdhsa_exception_fp_ieee_overflow 0
		.amdhsa_exception_fp_ieee_underflow 0
		.amdhsa_exception_fp_ieee_inexact 0
		.amdhsa_exception_int_div_zero 0
	.end_amdhsa_kernel
	.section	.text._ZL20rocblas_hbmvn_kernelILi64ELi16E19rocblas_complex_numIfEPKS1_PS1_EvbiiT1_T2_lllS6_lllS5_T3_llli,"axG",@progbits,_ZL20rocblas_hbmvn_kernelILi64ELi16E19rocblas_complex_numIfEPKS1_PS1_EvbiiT1_T2_lllS6_lllS5_T3_llli,comdat
.Lfunc_end1:
	.size	_ZL20rocblas_hbmvn_kernelILi64ELi16E19rocblas_complex_numIfEPKS1_PS1_EvbiiT1_T2_lllS6_lllS5_T3_llli, .Lfunc_end1-_ZL20rocblas_hbmvn_kernelILi64ELi16E19rocblas_complex_numIfEPKS1_PS1_EvbiiT1_T2_lllS6_lllS5_T3_llli
                                        ; -- End function
	.set _ZL20rocblas_hbmvn_kernelILi64ELi16E19rocblas_complex_numIfEPKS1_PS1_EvbiiT1_T2_lllS6_lllS5_T3_llli.num_vgpr, 40
	.set _ZL20rocblas_hbmvn_kernelILi64ELi16E19rocblas_complex_numIfEPKS1_PS1_EvbiiT1_T2_lllS6_lllS5_T3_llli.num_agpr, 0
	.set _ZL20rocblas_hbmvn_kernelILi64ELi16E19rocblas_complex_numIfEPKS1_PS1_EvbiiT1_T2_lllS6_lllS5_T3_llli.numbered_sgpr, 52
	.set _ZL20rocblas_hbmvn_kernelILi64ELi16E19rocblas_complex_numIfEPKS1_PS1_EvbiiT1_T2_lllS6_lllS5_T3_llli.num_named_barrier, 0
	.set _ZL20rocblas_hbmvn_kernelILi64ELi16E19rocblas_complex_numIfEPKS1_PS1_EvbiiT1_T2_lllS6_lllS5_T3_llli.private_seg_size, 0
	.set _ZL20rocblas_hbmvn_kernelILi64ELi16E19rocblas_complex_numIfEPKS1_PS1_EvbiiT1_T2_lllS6_lllS5_T3_llli.uses_vcc, 1
	.set _ZL20rocblas_hbmvn_kernelILi64ELi16E19rocblas_complex_numIfEPKS1_PS1_EvbiiT1_T2_lllS6_lllS5_T3_llli.uses_flat_scratch, 0
	.set _ZL20rocblas_hbmvn_kernelILi64ELi16E19rocblas_complex_numIfEPKS1_PS1_EvbiiT1_T2_lllS6_lllS5_T3_llli.has_dyn_sized_stack, 0
	.set _ZL20rocblas_hbmvn_kernelILi64ELi16E19rocblas_complex_numIfEPKS1_PS1_EvbiiT1_T2_lllS6_lllS5_T3_llli.has_recursion, 0
	.set _ZL20rocblas_hbmvn_kernelILi64ELi16E19rocblas_complex_numIfEPKS1_PS1_EvbiiT1_T2_lllS6_lllS5_T3_llli.has_indirect_call, 0
	.section	.AMDGPU.csdata,"",@progbits
; Kernel info:
; codeLenInByte = 2204
; TotalNumSgprs: 54
; NumVgprs: 40
; ScratchSize: 0
; MemoryBound: 0
; FloatMode: 240
; IeeeMode: 1
; LDSByteSize: 8192 bytes/workgroup (compile time only)
; SGPRBlocks: 0
; VGPRBlocks: 2
; NumSGPRsForWavesPerEU: 54
; NumVGPRsForWavesPerEU: 40
; NamedBarCnt: 0
; Occupancy: 16
; WaveLimiterHint : 1
; COMPUTE_PGM_RSRC2:SCRATCH_EN: 0
; COMPUTE_PGM_RSRC2:USER_SGPR: 2
; COMPUTE_PGM_RSRC2:TRAP_HANDLER: 0
; COMPUTE_PGM_RSRC2:TGID_X_EN: 1
; COMPUTE_PGM_RSRC2:TGID_Y_EN: 0
; COMPUTE_PGM_RSRC2:TGID_Z_EN: 1
; COMPUTE_PGM_RSRC2:TIDIG_COMP_CNT: 1
	.section	.text._ZL20rocblas_hbmvn_kernelILi64ELi16EPK19rocblas_complex_numIdES3_PS1_EvbiiT1_T2_lllS6_lllS5_T3_llli,"axG",@progbits,_ZL20rocblas_hbmvn_kernelILi64ELi16EPK19rocblas_complex_numIdES3_PS1_EvbiiT1_T2_lllS6_lllS5_T3_llli,comdat
	.globl	_ZL20rocblas_hbmvn_kernelILi64ELi16EPK19rocblas_complex_numIdES3_PS1_EvbiiT1_T2_lllS6_lllS5_T3_llli ; -- Begin function _ZL20rocblas_hbmvn_kernelILi64ELi16EPK19rocblas_complex_numIdES3_PS1_EvbiiT1_T2_lllS6_lllS5_T3_llli
	.p2align	8
	.type	_ZL20rocblas_hbmvn_kernelILi64ELi16EPK19rocblas_complex_numIdES3_PS1_EvbiiT1_T2_lllS6_lllS5_T3_llli,@function
_ZL20rocblas_hbmvn_kernelILi64ELi16EPK19rocblas_complex_numIdES3_PS1_EvbiiT1_T2_lllS6_lllS5_T3_llli: ; @_ZL20rocblas_hbmvn_kernelILi64ELi16EPK19rocblas_complex_numIdES3_PS1_EvbiiT1_T2_lllS6_lllS5_T3_llli
; %bb.0:
	s_load_b64 s[4:5], s[0:1], 0x94
	s_wait_kmcnt 0x0
	s_lshr_b32 s2, s4, 16
	s_and_b32 s3, s4, 0xffff
	s_and_b32 s4, s5, 0xffff
	s_mul_i32 s2, s2, s3
	s_delay_alu instid0(SALU_CYCLE_1) | instskip(NEXT) | instid1(SALU_CYCLE_1)
	s_mul_i32 s2, s2, s4
	s_cmp_lg_u32 s2, 0x400
	s_cbranch_scc1 .LBB2_54
; %bb.1:
	s_load_b512 s[4:19], s[0:1], 0x10
	s_wait_kmcnt 0x0
	s_load_b128 s[28:31], s[4:5], 0x0
	s_load_b256 s[20:27], s[0:1], 0x50
	s_wait_kmcnt 0x0
	v_cmp_neq_f64_e64 s2, s[28:29], 0
	v_cmp_neq_f64_e64 s4, s[30:31], 0
	s_load_b128 s[36:39], s[22:23], 0x0
	s_or_b32 s33, s2, s4
	s_mov_b32 s2, -1
	s_and_b32 vcc_lo, exec_lo, s33
	s_cbranch_vccnz .LBB2_3
; %bb.2:
	s_wait_kmcnt 0x0
	v_cmp_neq_f64_e64 s2, s[36:37], 1.0
	v_cmp_neq_f64_e64 s4, s[38:39], 0
	s_or_b32 s2, s2, s4
.LBB2_3:
	s_delay_alu instid0(SALU_CYCLE_1)
	s_and_not1_b32 vcc_lo, exec_lo, s2
	s_cbranch_vccnz .LBB2_54
; %bb.4:
	s_load_b32 s34, s[0:1], 0x80
	s_bfe_u32 s2, ttmp6, 0x40014
	s_lshr_b32 s4, ttmp7, 16
	s_add_co_i32 s2, s2, 1
	s_bfe_u32 s5, ttmp6, 0x40008
	s_mul_i32 s2, s4, s2
	s_getreg_b32 s40, hwreg(HW_REG_IB_STS2, 6, 4)
	s_add_co_i32 s5, s5, s2
	s_cmp_eq_u32 s40, 0
	s_wait_xcnt 0x0
	s_mov_b32 s23, 0
	s_cselect_b32 s22, s4, s5
	s_wait_kmcnt 0x0
	s_cmp_ge_u32 s22, s34
	s_cbranch_scc1 .LBB2_54
; %bb.5:
	s_load_b96 s[44:46], s[0:1], 0x0
	s_xor_b32 s35, s33, -1
	s_lshl_b64 s[8:9], s[8:9], 4
	s_lshl_b64 s[4:5], s[26:27], 4
	v_and_b32_e32 v1, 0x3ff, v0
	v_bfe_u32 v0, v0, 10, 10
	v_cmp_neq_f64_e64 s47, s[36:37], 0
	v_cmp_neq_f64_e64 s51, s[38:39], 0
	s_add_nc_u64 s[24:25], s[24:25], s[4:5]
	v_mad_u32_u24 v8, v0, s3, v1
	s_delay_alu instid0(VALU_DEP_1) | instskip(SKIP_3) | instid1(SALU_CYCLE_1)
	v_dual_mov_b32 v9, 0 :: v_dual_bitop2_b32 v18, 63, v8 bitop3:0x40
	s_wait_kmcnt 0x0
	s_bitcmp1_b32 s44, 0
	s_cselect_b32 s2, -1, 0
	s_and_b32 s26, s2, exec_lo
	s_cselect_b32 s50, s46, 0
	s_bfe_u32 s26, ttmp6, 0x4000c
	s_and_b32 s3, ttmp6, 15
	s_add_co_i32 s26, s26, 1
	s_xor_b32 s44, s2, -1
	s_mul_i32 s26, ttmp9, s26
	v_sub_nc_u32_e32 v19, s50, v18
	s_add_co_i32 s3, s3, s26
	s_cmp_eq_u32 s40, 0
	s_load_b128 s[40:43], s[0:1], 0x70
	s_cselect_b32 s3, ttmp9, s3
	s_add_nc_u64 s[26:27], s[6:7], s[8:9]
	s_lshl_b32 s3, s3, 6
	s_delay_alu instid0(SALU_CYCLE_1) | instskip(SKIP_2) | instid1(VALU_DEP_2)
	v_dual_mov_b32 v11, v9 :: v_dual_bitop2_b32 v12, s3, v18 bitop3:0x54
	v_dual_lshrrev_b32 v10, 6, v8 :: v_dual_add_nc_u32 v6, s3, v8
	s_cmp_eq_u32 s46, 0
	v_ashrrev_i32_e32 v13, 31, v12
	s_delay_alu instid0(VALU_DEP_2)
	v_mul_u64_e32 v[0:1], s[18:19], v[10:11]
	v_mul_u64_e32 v[2:3], s[10:11], v[10:11]
	v_ashrrev_i32_e32 v7, 31, v6
	s_cselect_b32 s52, -1, 0
	v_lshlrev_b64_e32 v[4:5], 4, v[12:13]
	s_wait_xcnt 0x0
	s_lshl_b64 s[0:1], s[10:11], 4
	v_mul_u64_e32 v[14:15], s[10:11], v[12:13]
	s_add_nc_u64 s[48:49], s[0:1], -16
	s_lshl_b64 s[4:5], s[16:17], 4
	s_wait_kmcnt 0x0
	v_mul_u64_e32 v[16:17], s[40:41], v[6:7]
	v_add3_u32 v7, s46, s3, v18
	v_mad_nc_u64_u32 v[4:5], v10, s48, v[4:5]
	s_add_nc_u64 s[4:5], s[14:15], s[4:5]
	v_lshlrev_b32_e32 v11, 4, v8
	v_cmp_gt_u32_e64 s0, 64, v8
	v_dual_sub_nc_u32 v18, v7, v10 :: v_dual_sub_nc_u32 v8, v12, v10
	v_cmp_gt_i32_e64 s1, s45, v10
	v_subrev_nc_u32_e32 v13, s3, v19
	v_cmp_gt_i32_e64 s3, s45, v12
	s_lshl_b64 s[10:11], s[10:11], 8
	v_cndmask_b32_e64 v19, v8, v18, s2
	v_mad_u32 v5, v10, s49, v5
	s_mov_b64 s[14:15], 0xffffffffffffff00
	s_or_b32 s40, s47, s51
	s_lshl_b64 s[16:17], s[20:21], 4
	s_lshl_b64 s[18:19], s[18:19], 8
	s_or_b32 s41, s44, s52
	s_add_nc_u64 s[14:15], s[10:11], s[14:15]
	v_lshl_add_u64 v[0:1], v[0:1], 4, s[4:5]
	s_delay_alu instid0(VALU_DEP_2)
	v_add_nc_u64_e32 v[4:5], s[6:7], v[4:5]
	v_lshl_add_u64 v[20:21], v[2:3], 4, s[6:7]
	v_cmp_gt_i32_e64 s4, s45, v6
	s_lshl_b64 s[6:7], s[12:13], 4
	v_add_nc_u64_e32 v[22:23], 8, v[0:1]
	v_add_nc_u64_e32 v[24:25], 8, v[20:21]
	;; [unrolled: 1-line block ×3, first 2 shown]
	s_branch .LBB2_7
.LBB2_6:                                ;   in Loop: Header=BB2_7 Depth=1
	s_wait_xcnt 0x0
	s_or_b32 exec_lo, exec_lo, s5
	s_add_co_i32 s22, s22, 0x10000
	s_delay_alu instid0(SALU_CYCLE_1)
	s_cmp_lt_u32 s22, s34
	s_cbranch_scc0 .LBB2_54
.LBB2_7:                                ; =>This Loop Header: Depth=1
                                        ;     Child Loop BB2_13 Depth 2
	s_and_not1_b32 vcc_lo, exec_lo, s33
	s_cbranch_vccnz .LBB2_39
; %bb.8:                                ;   in Loop: Header=BB2_7 Depth=1
	v_mov_b64_e32 v[2:3], 0
	v_mov_b64_e32 v[0:1], 0
	s_and_saveexec_b32 s47, s1
	s_cbranch_execz .LBB2_38
; %bb.9:                                ;   in Loop: Header=BB2_7 Depth=1
	v_mad_nc_u64_u32 v[4:5], s16, s22, v[22:23]
	s_mul_u64 s[48:49], s[12:13], s[22:23]
	s_mul_u64 s[20:21], s[6:7], s[22:23]
	s_lshl_b64 s[48:49], s[48:49], 4
	v_add_nc_u64_e32 v[6:7], s[20:21], v[24:25]
	v_add_nc_u64_e32 v[28:29], s[20:21], v[20:21]
	s_add_nc_u64 s[48:49], s[26:27], s[48:49]
	v_add_nc_u64_e32 v[30:31], s[20:21], v[26:27]
	v_mov_b64_e32 v[2:3], 0
	v_mov_b64_e32 v[0:1], 0
	v_lshl_add_u64 v[32:33], v[14:15], 4, s[48:49]
	v_mad_u32 v5, s17, s22, v5
	v_dual_mov_b32 v34, v18 :: v_dual_mov_b32 v42, v10
	s_mov_b64 s[20:21], 0
	s_mov_b32 s48, 0
	s_branch .LBB2_13
.LBB2_10:                               ;   in Loop: Header=BB2_13 Depth=2
	s_or_b32 exec_lo, exec_lo, s5
.LBB2_11:                               ;   in Loop: Header=BB2_13 Depth=2
	s_delay_alu instid0(SALU_CYCLE_1)
	s_or_b32 exec_lo, exec_lo, s50
.LBB2_12:                               ;   in Loop: Header=BB2_13 Depth=2
	s_delay_alu instid0(SALU_CYCLE_1) | instskip(SKIP_1) | instid1(VALU_DEP_3)
	s_or_b32 exec_lo, exec_lo, s49
	v_add_nc_u32_e32 v42, 16, v42
	v_add_nc_u64_e32 v[4:5], s[18:19], v[4:5]
	v_add_nc_u64_e32 v[6:7], s[10:11], v[6:7]
	;; [unrolled: 1-line block ×4, first 2 shown]
	v_cmp_le_i32_e32 vcc_lo, s45, v42
	v_add_nc_u32_e32 v34, -16, v34
	s_add_nc_u64 s[20:21], s[20:21], -16
	s_or_b32 s48, vcc_lo, s48
	s_delay_alu instid0(SALU_CYCLE_1)
	s_and_not1_b32 exec_lo, exec_lo, s48
	s_cbranch_execz .LBB2_37
.LBB2_13:                               ;   Parent Loop BB2_7 Depth=1
                                        ; =>  This Inner Loop Header: Depth=2
	s_and_saveexec_b32 s49, s3
	s_cbranch_execz .LBB2_12
; %bb.14:                               ;   in Loop: Header=BB2_13 Depth=2
	v_cmp_gt_i32_e32 vcc_lo, v12, v42
	v_cndmask_b32_e64 v8, 0, 1, vcc_lo
	v_cmp_lt_i32_e32 vcc_lo, v12, v42
	v_cndmask_b32_e64 v35, 0, 1, vcc_lo
	s_delay_alu instid0(VALU_DEP_1) | instskip(NEXT) | instid1(VALU_DEP_1)
	v_cndmask_b32_e64 v8, v35, v8, s2
	v_and_b32_e32 v8, 1, v8
	s_delay_alu instid0(VALU_DEP_1) | instskip(SKIP_1) | instid1(SALU_CYCLE_1)
	v_cmp_eq_u32_e32 vcc_lo, 1, v8
	s_xor_b32 s5, vcc_lo, -1
	s_and_saveexec_b32 s50, s5
	s_delay_alu instid0(SALU_CYCLE_1)
	s_xor_b32 s50, exec_lo, s50
	s_cbranch_execz .LBB2_34
; %bb.15:                               ;   in Loop: Header=BB2_13 Depth=2
	v_add_nc_u32_e32 v8, s20, v19
	s_delay_alu instid0(VALU_DEP_1) | instskip(SKIP_2) | instid1(SALU_CYCLE_1)
	v_cmp_le_i32_e32 vcc_lo, s46, v8
	v_cmp_gt_i32_e64 s5, 1, v8
	s_or_b32 s5, vcc_lo, s5
	s_and_saveexec_b32 s51, s5
	s_delay_alu instid0(SALU_CYCLE_1)
	s_xor_b32 s5, exec_lo, s51
	s_cbranch_execz .LBB2_31
; %bb.16:                               ;   in Loop: Header=BB2_13 Depth=2
	s_mov_b32 s51, exec_lo
	v_cmpx_ne_u32_e32 0, v8
	s_xor_b32 s51, exec_lo, s51
	s_cbranch_execz .LBB2_24
; %bb.17:                               ;   in Loop: Header=BB2_13 Depth=2
	s_mov_b32 s52, exec_lo
	v_cmpx_eq_u32_e64 s46, v8
	s_cbranch_execz .LBB2_23
; %bb.18:                               ;   in Loop: Header=BB2_13 Depth=2
	s_and_b32 vcc_lo, exec_lo, s44
	s_mov_b32 s53, -1
                                        ; implicit-def: $vgpr36_vgpr37
                                        ; implicit-def: $vgpr38_vgpr39
	s_cbranch_vccz .LBB2_20
; %bb.19:                               ;   in Loop: Header=BB2_13 Depth=2
	v_add_nc_u64_e32 v[40:41], s[8:9], v[30:31]
	s_mov_b32 s53, 0
	global_load_b128 v[36:39], v[4:5], off offset:-8
	global_load_b128 v[44:47], v[40:41], off offset:-8
	s_wait_loadcnt 0x0
	s_wait_xcnt 0x0
	v_mul_f64_e32 v[40:41], v[38:39], v[46:47]
	v_mul_f64_e32 v[46:47], v[36:37], v[46:47]
	s_delay_alu instid0(VALU_DEP_2) | instskip(NEXT) | instid1(VALU_DEP_2)
	v_fma_f64 v[36:37], v[36:37], v[44:45], -v[40:41]
	v_fmac_f64_e32 v[46:47], v[38:39], v[44:45]
	s_delay_alu instid0(VALU_DEP_2) | instskip(NEXT) | instid1(VALU_DEP_2)
	v_add_f64_e32 v[38:39], v[0:1], v[36:37]
	v_add_f64_e32 v[36:37], v[2:3], v[46:47]
.LBB2_20:                               ;   in Loop: Header=BB2_13 Depth=2
	s_and_not1_b32 vcc_lo, exec_lo, s53
	s_cbranch_vccnz .LBB2_22
; %bb.21:                               ;   in Loop: Header=BB2_13 Depth=2
	v_ashrrev_i32_e32 v35, 31, v34
	s_delay_alu instid0(VALU_DEP_1) | instskip(NEXT) | instid1(VALU_DEP_1)
	v_lshl_add_u64 v[36:37], v[34:35], 4, v[28:29]
	v_add_nc_u64_e32 v[40:41], s[8:9], v[36:37]
	global_load_b128 v[36:39], v[4:5], off offset:-8
	global_load_b64 v[44:45], v[40:41], off
	s_wait_loadcnt 0x0
	v_fmac_f64_e32 v[2:3], v[44:45], v[38:39]
	v_fmac_f64_e32 v[0:1], v[44:45], v[36:37]
	s_delay_alu instid0(VALU_DEP_2) | instskip(NEXT) | instid1(VALU_DEP_2)
	v_mov_b64_e32 v[36:37], v[2:3]
	v_mov_b64_e32 v[38:39], v[0:1]
.LBB2_22:                               ;   in Loop: Header=BB2_13 Depth=2
	s_delay_alu instid0(VALU_DEP_1) | instskip(NEXT) | instid1(VALU_DEP_2)
	v_mov_b64_e32 v[2:3], v[36:37]
	v_mov_b64_e32 v[0:1], v[38:39]
.LBB2_23:                               ;   in Loop: Header=BB2_13 Depth=2
	s_wait_xcnt 0x0
	s_or_b32 exec_lo, exec_lo, s52
.LBB2_24:                               ;   in Loop: Header=BB2_13 Depth=2
	s_and_not1_saveexec_b32 s51, s51
	s_cbranch_execz .LBB2_30
; %bb.25:                               ;   in Loop: Header=BB2_13 Depth=2
	v_add_nc_u64_e32 v[36:37], s[8:9], v[6:7]
	s_and_not1_b32 vcc_lo, exec_lo, s41
	s_mov_b32 s52, -1
                                        ; implicit-def: $vgpr40_vgpr41
                                        ; implicit-def: $vgpr38_vgpr39
	s_cbranch_vccnz .LBB2_27
; %bb.26:                               ;   in Loop: Header=BB2_13 Depth=2
	global_load_b64 v[44:45], v[36:37], off offset:-8
	global_load_b128 v[38:41], v[4:5], off offset:-8
	s_mov_b32 s52, 0
	s_wait_loadcnt 0x0
	v_fma_f64 v[38:39], v[44:45], v[38:39], v[0:1]
	v_fma_f64 v[40:41], v[44:45], v[40:41], v[2:3]
.LBB2_27:                               ;   in Loop: Header=BB2_13 Depth=2
	s_and_not1_b32 vcc_lo, exec_lo, s52
	s_cbranch_vccnz .LBB2_29
; %bb.28:                               ;   in Loop: Header=BB2_13 Depth=2
	global_load_b128 v[38:41], v[4:5], off offset:-8
	global_load_b128 v[44:47], v[36:37], off offset:-8
	s_wait_loadcnt 0x0
	s_wait_xcnt 0x0
	v_mul_f64_e32 v[36:37], v[40:41], v[46:47]
	v_mul_f64_e32 v[46:47], v[38:39], v[46:47]
	s_delay_alu instid0(VALU_DEP_2) | instskip(NEXT) | instid1(VALU_DEP_2)
	v_fma_f64 v[36:37], v[38:39], v[44:45], -v[36:37]
	v_fmac_f64_e32 v[46:47], v[40:41], v[44:45]
	s_delay_alu instid0(VALU_DEP_2) | instskip(NEXT) | instid1(VALU_DEP_2)
	v_add_f64_e32 v[38:39], v[0:1], v[36:37]
	v_add_f64_e32 v[40:41], v[2:3], v[46:47]
.LBB2_29:                               ;   in Loop: Header=BB2_13 Depth=2
	s_delay_alu instid0(VALU_DEP_1) | instskip(NEXT) | instid1(VALU_DEP_3)
	v_mov_b64_e32 v[2:3], v[40:41]
	v_mov_b64_e32 v[0:1], v[38:39]
.LBB2_30:                               ;   in Loop: Header=BB2_13 Depth=2
	s_wait_xcnt 0x0
	s_or_b32 exec_lo, exec_lo, s51
.LBB2_31:                               ;   in Loop: Header=BB2_13 Depth=2
	s_and_not1_saveexec_b32 s5, s5
	s_cbranch_execz .LBB2_33
; %bb.32:                               ;   in Loop: Header=BB2_13 Depth=2
	v_add_nc_u64_e32 v[36:37], s[8:9], v[6:7]
	s_delay_alu instid0(VALU_DEP_1)
	v_lshl_add_u64 v[40:41], v[8:9], 4, v[36:37]
	global_load_b128 v[36:39], v[4:5], off offset:-8
	global_load_b128 v[44:47], v[40:41], off offset:-8
	s_wait_loadcnt 0x0
	s_wait_xcnt 0x0
	v_mul_f64_e32 v[40:41], v[38:39], v[46:47]
	v_mul_f64_e32 v[46:47], v[36:37], v[46:47]
	s_delay_alu instid0(VALU_DEP_2) | instskip(NEXT) | instid1(VALU_DEP_2)
	v_fma_f64 v[36:37], v[36:37], v[44:45], -v[40:41]
	v_fmac_f64_e32 v[46:47], v[38:39], v[44:45]
	s_delay_alu instid0(VALU_DEP_2) | instskip(NEXT) | instid1(VALU_DEP_2)
	v_add_f64_e32 v[0:1], v[0:1], v[36:37]
	v_add_f64_e32 v[2:3], v[2:3], v[46:47]
.LBB2_33:                               ;   in Loop: Header=BB2_13 Depth=2
	s_or_b32 exec_lo, exec_lo, s5
.LBB2_34:                               ;   in Loop: Header=BB2_13 Depth=2
	s_and_not1_saveexec_b32 s50, s50
	s_cbranch_execz .LBB2_11
; %bb.35:                               ;   in Loop: Header=BB2_13 Depth=2
	v_add_nc_u32_e32 v8, v13, v42
	s_delay_alu instid0(VALU_DEP_1) | instskip(SKIP_2) | instid1(SALU_CYCLE_1)
	v_cmp_ge_i32_e32 vcc_lo, s46, v8
	v_cmp_lt_i32_e64 s5, -1, v8
	s_and_b32 s51, vcc_lo, s5
	s_and_saveexec_b32 s5, s51
	s_cbranch_execz .LBB2_10
; %bb.36:                               ;   in Loop: Header=BB2_13 Depth=2
	v_lshl_add_u64 v[40:41], v[8:9], 4, v[32:33]
	global_load_b128 v[36:39], v[4:5], off offset:-8
	global_load_b128 v[44:47], v[40:41], off
	s_wait_loadcnt 0x0
	s_wait_xcnt 0x0
	v_mul_f64_e32 v[40:41], v[46:47], v[38:39]
	v_mul_f64_e32 v[46:47], v[46:47], v[36:37]
	s_delay_alu instid0(VALU_DEP_2) | instskip(NEXT) | instid1(VALU_DEP_2)
	v_fmac_f64_e32 v[40:41], v[44:45], v[36:37]
	v_fma_f64 v[36:37], v[44:45], v[38:39], -v[46:47]
	s_delay_alu instid0(VALU_DEP_2) | instskip(NEXT) | instid1(VALU_DEP_2)
	v_add_f64_e32 v[0:1], v[0:1], v[40:41]
	v_add_f64_e32 v[2:3], v[2:3], v[36:37]
	s_branch .LBB2_10
.LBB2_37:                               ;   in Loop: Header=BB2_7 Depth=1
	s_or_b32 exec_lo, exec_lo, s48
.LBB2_38:                               ;   in Loop: Header=BB2_7 Depth=1
	s_delay_alu instid0(SALU_CYCLE_1)
	s_or_b32 exec_lo, exec_lo, s47
	ds_store_b128 v11, v[0:3]
	s_wait_dscnt 0x0
	s_barrier_signal -1
	s_barrier_wait -1
.LBB2_39:                               ;   in Loop: Header=BB2_7 Depth=1
	s_and_saveexec_b32 s5, s0
	s_cbranch_execz .LBB2_6
; %bb.40:                               ;   in Loop: Header=BB2_7 Depth=1
	s_mul_u64 s[20:21], s[42:43], s[22:23]
	s_and_b32 vcc_lo, exec_lo, s35
	s_lshl_b64 s[20:21], s[20:21], 4
	s_delay_alu instid0(SALU_CYCLE_1)
	s_add_nc_u64 s[20:21], s[24:25], s[20:21]
	s_cbranch_vccz .LBB2_46
; %bb.41:                               ;   in Loop: Header=BB2_7 Depth=1
	s_mov_b32 s48, 0
	s_mov_b32 s47, 0
                                        ; implicit-def: $vgpr2_vgpr3
	s_and_saveexec_b32 s49, s4
	s_delay_alu instid0(SALU_CYCLE_1)
	s_xor_b32 s49, exec_lo, s49
	s_cbranch_execz .LBB2_45
; %bb.42:                               ;   in Loop: Header=BB2_7 Depth=1
	v_mov_b64_e32 v[2:3], 0
	v_mov_b64_e32 v[0:1], 0
	s_and_not1_b32 vcc_lo, exec_lo, s40
	s_cbranch_vccnz .LBB2_44
; %bb.43:                               ;   in Loop: Header=BB2_7 Depth=1
	v_lshl_add_u64 v[0:1], v[16:17], 4, s[20:21]
	global_load_b128 v[4:7], v[0:1], off
	s_wait_loadcnt 0x0
	s_wait_xcnt 0x0
	v_mul_f64_e32 v[0:1], s[38:39], v[6:7]
	v_mul_f64_e32 v[2:3], s[36:37], v[6:7]
	s_delay_alu instid0(VALU_DEP_2) | instskip(NEXT) | instid1(VALU_DEP_2)
	v_fma_f64 v[0:1], s[36:37], v[4:5], -v[0:1]
	v_fmac_f64_e32 v[2:3], s[38:39], v[4:5]
.LBB2_44:                               ;   in Loop: Header=BB2_7 Depth=1
	s_mov_b32 s47, exec_lo
.LBB2_45:                               ;   in Loop: Header=BB2_7 Depth=1
	s_or_b32 exec_lo, exec_lo, s49
	s_delay_alu instid0(SALU_CYCLE_1)
	s_and_b32 vcc_lo, exec_lo, s48
	s_cbranch_vccnz .LBB2_47
	s_branch .LBB2_52
.LBB2_46:                               ;   in Loop: Header=BB2_7 Depth=1
	s_mov_b32 s47, 0
                                        ; implicit-def: $vgpr2_vgpr3
	s_cbranch_execz .LBB2_52
.LBB2_47:                               ;   in Loop: Header=BB2_7 Depth=1
	ds_load_b128 v[0:3], v11
	ds_load_b128 v[4:7], v11 offset:1024
	s_wait_dscnt 0x0
	v_add_f64_e32 v[28:29], v[0:1], v[4:5]
	v_add_f64_e32 v[30:31], v[2:3], v[6:7]
	ds_load_b128 v[0:3], v11 offset:2048
	ds_load_b128 v[4:7], v11 offset:3072
	s_wait_dscnt 0x1
	v_add_f64_e32 v[0:1], v[28:29], v[0:1]
	v_add_f64_e32 v[2:3], v[30:31], v[2:3]
	s_wait_dscnt 0x0
	s_delay_alu instid0(VALU_DEP_2) | instskip(NEXT) | instid1(VALU_DEP_2)
	v_add_f64_e32 v[28:29], v[0:1], v[4:5]
	v_add_f64_e32 v[30:31], v[2:3], v[6:7]
	ds_load_b128 v[0:3], v11 offset:4096
	ds_load_b128 v[4:7], v11 offset:5120
	s_wait_dscnt 0x1
	v_add_f64_e32 v[0:1], v[28:29], v[0:1]
	v_add_f64_e32 v[2:3], v[30:31], v[2:3]
	s_wait_dscnt 0x0
	s_delay_alu instid0(VALU_DEP_2) | instskip(NEXT) | instid1(VALU_DEP_2)
	;; [unrolled: 9-line block ×7, first 2 shown]
	v_add_f64_e32 v[4:5], v[0:1], v[4:5]
	v_add_f64_e32 v[6:7], v[2:3], v[6:7]
                                        ; implicit-def: $vgpr2_vgpr3
	ds_store_b128 v11, v[4:7]
	s_and_saveexec_b32 s48, s4
	s_cbranch_execz .LBB2_51
; %bb.48:                               ;   in Loop: Header=BB2_7 Depth=1
	v_mul_f64_e32 v[0:1], s[30:31], v[6:7]
	v_mul_f64_e32 v[2:3], s[28:29], v[6:7]
	s_and_not1_b32 vcc_lo, exec_lo, s40
	s_delay_alu instid0(VALU_DEP_2) | instskip(NEXT) | instid1(VALU_DEP_2)
	v_fma_f64 v[0:1], s[28:29], v[4:5], -v[0:1]
	v_fmac_f64_e32 v[2:3], s[30:31], v[4:5]
	s_cbranch_vccnz .LBB2_50
; %bb.49:                               ;   in Loop: Header=BB2_7 Depth=1
	v_lshl_add_u64 v[4:5], v[16:17], 4, s[20:21]
	global_load_b128 v[4:7], v[4:5], off
	s_wait_loadcnt 0x0
	v_mul_f64_e32 v[28:29], s[38:39], v[6:7]
	v_mul_f64_e32 v[6:7], s[36:37], v[6:7]
	s_delay_alu instid0(VALU_DEP_2) | instskip(NEXT) | instid1(VALU_DEP_2)
	v_fma_f64 v[28:29], s[36:37], v[4:5], -v[28:29]
	v_fmac_f64_e32 v[6:7], s[38:39], v[4:5]
	s_delay_alu instid0(VALU_DEP_2) | instskip(NEXT) | instid1(VALU_DEP_2)
	v_add_f64_e32 v[0:1], v[0:1], v[28:29]
	v_add_f64_e32 v[2:3], v[2:3], v[6:7]
.LBB2_50:                               ;   in Loop: Header=BB2_7 Depth=1
	s_or_b32 s47, s47, exec_lo
.LBB2_51:                               ;   in Loop: Header=BB2_7 Depth=1
	s_wait_xcnt 0x0
	s_or_b32 exec_lo, exec_lo, s48
.LBB2_52:                               ;   in Loop: Header=BB2_7 Depth=1
	s_delay_alu instid0(SALU_CYCLE_1)
	s_and_b32 exec_lo, exec_lo, s47
	s_cbranch_execz .LBB2_6
; %bb.53:                               ;   in Loop: Header=BB2_7 Depth=1
	v_lshl_add_u64 v[4:5], v[16:17], 4, s[20:21]
	global_store_b128 v[4:5], v[0:3], off
	s_branch .LBB2_6
.LBB2_54:
	s_endpgm
	.section	.rodata,"a",@progbits
	.p2align	6, 0x0
	.amdhsa_kernel _ZL20rocblas_hbmvn_kernelILi64ELi16EPK19rocblas_complex_numIdES3_PS1_EvbiiT1_T2_lllS6_lllS5_T3_llli
		.amdhsa_group_segment_fixed_size 16384
		.amdhsa_private_segment_fixed_size 0
		.amdhsa_kernarg_size 392
		.amdhsa_user_sgpr_count 2
		.amdhsa_user_sgpr_dispatch_ptr 0
		.amdhsa_user_sgpr_queue_ptr 0
		.amdhsa_user_sgpr_kernarg_segment_ptr 1
		.amdhsa_user_sgpr_dispatch_id 0
		.amdhsa_user_sgpr_kernarg_preload_length 0
		.amdhsa_user_sgpr_kernarg_preload_offset 0
		.amdhsa_user_sgpr_private_segment_size 0
		.amdhsa_wavefront_size32 1
		.amdhsa_uses_dynamic_stack 0
		.amdhsa_enable_private_segment 0
		.amdhsa_system_sgpr_workgroup_id_x 1
		.amdhsa_system_sgpr_workgroup_id_y 0
		.amdhsa_system_sgpr_workgroup_id_z 1
		.amdhsa_system_sgpr_workgroup_info 0
		.amdhsa_system_vgpr_workitem_id 1
		.amdhsa_next_free_vgpr 48
		.amdhsa_next_free_sgpr 54
		.amdhsa_named_barrier_count 0
		.amdhsa_reserve_vcc 1
		.amdhsa_float_round_mode_32 0
		.amdhsa_float_round_mode_16_64 0
		.amdhsa_float_denorm_mode_32 3
		.amdhsa_float_denorm_mode_16_64 3
		.amdhsa_fp16_overflow 0
		.amdhsa_memory_ordered 1
		.amdhsa_forward_progress 1
		.amdhsa_inst_pref_size 18
		.amdhsa_round_robin_scheduling 0
		.amdhsa_exception_fp_ieee_invalid_op 0
		.amdhsa_exception_fp_denorm_src 0
		.amdhsa_exception_fp_ieee_div_zero 0
		.amdhsa_exception_fp_ieee_overflow 0
		.amdhsa_exception_fp_ieee_underflow 0
		.amdhsa_exception_fp_ieee_inexact 0
		.amdhsa_exception_int_div_zero 0
	.end_amdhsa_kernel
	.section	.text._ZL20rocblas_hbmvn_kernelILi64ELi16EPK19rocblas_complex_numIdES3_PS1_EvbiiT1_T2_lllS6_lllS5_T3_llli,"axG",@progbits,_ZL20rocblas_hbmvn_kernelILi64ELi16EPK19rocblas_complex_numIdES3_PS1_EvbiiT1_T2_lllS6_lllS5_T3_llli,comdat
.Lfunc_end2:
	.size	_ZL20rocblas_hbmvn_kernelILi64ELi16EPK19rocblas_complex_numIdES3_PS1_EvbiiT1_T2_lllS6_lllS5_T3_llli, .Lfunc_end2-_ZL20rocblas_hbmvn_kernelILi64ELi16EPK19rocblas_complex_numIdES3_PS1_EvbiiT1_T2_lllS6_lllS5_T3_llli
                                        ; -- End function
	.set _ZL20rocblas_hbmvn_kernelILi64ELi16EPK19rocblas_complex_numIdES3_PS1_EvbiiT1_T2_lllS6_lllS5_T3_llli.num_vgpr, 48
	.set _ZL20rocblas_hbmvn_kernelILi64ELi16EPK19rocblas_complex_numIdES3_PS1_EvbiiT1_T2_lllS6_lllS5_T3_llli.num_agpr, 0
	.set _ZL20rocblas_hbmvn_kernelILi64ELi16EPK19rocblas_complex_numIdES3_PS1_EvbiiT1_T2_lllS6_lllS5_T3_llli.numbered_sgpr, 54
	.set _ZL20rocblas_hbmvn_kernelILi64ELi16EPK19rocblas_complex_numIdES3_PS1_EvbiiT1_T2_lllS6_lllS5_T3_llli.num_named_barrier, 0
	.set _ZL20rocblas_hbmvn_kernelILi64ELi16EPK19rocblas_complex_numIdES3_PS1_EvbiiT1_T2_lllS6_lllS5_T3_llli.private_seg_size, 0
	.set _ZL20rocblas_hbmvn_kernelILi64ELi16EPK19rocblas_complex_numIdES3_PS1_EvbiiT1_T2_lllS6_lllS5_T3_llli.uses_vcc, 1
	.set _ZL20rocblas_hbmvn_kernelILi64ELi16EPK19rocblas_complex_numIdES3_PS1_EvbiiT1_T2_lllS6_lllS5_T3_llli.uses_flat_scratch, 0
	.set _ZL20rocblas_hbmvn_kernelILi64ELi16EPK19rocblas_complex_numIdES3_PS1_EvbiiT1_T2_lllS6_lllS5_T3_llli.has_dyn_sized_stack, 0
	.set _ZL20rocblas_hbmvn_kernelILi64ELi16EPK19rocblas_complex_numIdES3_PS1_EvbiiT1_T2_lllS6_lllS5_T3_llli.has_recursion, 0
	.set _ZL20rocblas_hbmvn_kernelILi64ELi16EPK19rocblas_complex_numIdES3_PS1_EvbiiT1_T2_lllS6_lllS5_T3_llli.has_indirect_call, 0
	.section	.AMDGPU.csdata,"",@progbits
; Kernel info:
; codeLenInByte = 2248
; TotalNumSgprs: 56
; NumVgprs: 48
; ScratchSize: 0
; MemoryBound: 1
; FloatMode: 240
; IeeeMode: 1
; LDSByteSize: 16384 bytes/workgroup (compile time only)
; SGPRBlocks: 0
; VGPRBlocks: 2
; NumSGPRsForWavesPerEU: 56
; NumVGPRsForWavesPerEU: 48
; NamedBarCnt: 0
; Occupancy: 16
; WaveLimiterHint : 0
; COMPUTE_PGM_RSRC2:SCRATCH_EN: 0
; COMPUTE_PGM_RSRC2:USER_SGPR: 2
; COMPUTE_PGM_RSRC2:TRAP_HANDLER: 0
; COMPUTE_PGM_RSRC2:TGID_X_EN: 1
; COMPUTE_PGM_RSRC2:TGID_Y_EN: 0
; COMPUTE_PGM_RSRC2:TGID_Z_EN: 1
; COMPUTE_PGM_RSRC2:TIDIG_COMP_CNT: 1
	.section	.text._ZL20rocblas_hbmvn_kernelILi64ELi16E19rocblas_complex_numIdEPKS1_PS1_EvbiiT1_T2_lllS6_lllS5_T3_llli,"axG",@progbits,_ZL20rocblas_hbmvn_kernelILi64ELi16E19rocblas_complex_numIdEPKS1_PS1_EvbiiT1_T2_lllS6_lllS5_T3_llli,comdat
	.globl	_ZL20rocblas_hbmvn_kernelILi64ELi16E19rocblas_complex_numIdEPKS1_PS1_EvbiiT1_T2_lllS6_lllS5_T3_llli ; -- Begin function _ZL20rocblas_hbmvn_kernelILi64ELi16E19rocblas_complex_numIdEPKS1_PS1_EvbiiT1_T2_lllS6_lllS5_T3_llli
	.p2align	8
	.type	_ZL20rocblas_hbmvn_kernelILi64ELi16E19rocblas_complex_numIdEPKS1_PS1_EvbiiT1_T2_lllS6_lllS5_T3_llli,@function
_ZL20rocblas_hbmvn_kernelILi64ELi16E19rocblas_complex_numIdEPKS1_PS1_EvbiiT1_T2_lllS6_lllS5_T3_llli: ; @_ZL20rocblas_hbmvn_kernelILi64ELi16E19rocblas_complex_numIdEPKS1_PS1_EvbiiT1_T2_lllS6_lllS5_T3_llli
; %bb.0:
	s_load_b64 s[2:3], s[0:1], 0xa4
	s_wait_kmcnt 0x0
	s_lshr_b32 s5, s2, 16
	s_and_b32 s4, s2, 0xffff
	s_and_b32 s2, s3, 0xffff
	s_mul_i32 s3, s5, s4
	s_delay_alu instid0(SALU_CYCLE_1) | instskip(NEXT) | instid1(SALU_CYCLE_1)
	s_mul_i32 s3, s3, s2
	s_cmp_lg_u32 s3, 0x400
	s_cbranch_scc1 .LBB3_54
; %bb.1:
	s_clause 0x1
	s_load_b512 s[8:23], s[0:1], 0x10
	s_load_b512 s[36:51], s[0:1], 0x50
	s_wait_kmcnt 0x0
	v_cmp_neq_f64_e64 s2, s[8:9], 0
	v_cmp_neq_f64_e64 s3, s[10:11], 0
	s_or_b32 s27, s2, s3
	s_mov_b32 s2, -1
	s_and_b32 vcc_lo, exec_lo, s27
	s_cbranch_vccnz .LBB3_3
; %bb.2:
	v_cmp_neq_f64_e64 s2, s[40:41], 1.0
	v_cmp_neq_f64_e64 s3, s[42:43], 0
	s_or_b32 s2, s2, s3
.LBB3_3:
	s_delay_alu instid0(SALU_CYCLE_1)
	s_and_not1_b32 vcc_lo, exec_lo, s2
	s_cbranch_vccnz .LBB3_54
; %bb.4:
	s_load_b32 s33, s[0:1], 0x90
	s_bfe_u32 s2, ttmp6, 0x40014
	s_lshr_b32 s3, ttmp7, 16
	s_add_co_i32 s2, s2, 1
	s_bfe_u32 s6, ttmp6, 0x40008
	s_mul_i32 s2, s3, s2
	s_getreg_b32 s5, hwreg(HW_REG_IB_STS2, 6, 4)
	s_add_co_i32 s6, s6, s2
	s_cmp_eq_u32 s5, 0
	s_mov_b32 s7, 0
	s_cselect_b32 s6, s3, s6
	s_wait_kmcnt 0x0
	s_cmp_ge_u32 s6, s33
	s_cbranch_scc1 .LBB3_54
; %bb.5:
	s_load_b96 s[24:26], s[0:1], 0x0
	s_xor_b32 s52, s27, -1
	s_lshl_b64 s[14:15], s[14:15], 4
	s_lshl_b64 s[2:3], s[46:47], 4
	v_and_b32_e32 v1, 0x3ff, v0
	v_bfe_u32 v0, v0, 10, 10
	v_cmp_neq_f64_e64 s34, s[40:41], 0
	v_cmp_neq_f64_e64 s35, s[42:43], 0
	s_add_nc_u64 s[30:31], s[44:45], s[2:3]
	v_mad_u32_u24 v8, v0, s4, v1
	s_delay_alu instid0(VALU_DEP_1) | instskip(SKIP_3) | instid1(SALU_CYCLE_1)
	v_dual_mov_b32 v9, 0 :: v_dual_bitop2_b32 v18, 63, v8 bitop3:0x40
	s_wait_kmcnt 0x0
	s_bitcmp1_b32 s24, 0
	s_cselect_b32 s0, -1, 0
	s_and_b32 s1, s0, exec_lo
	s_cselect_b32 s1, s26, 0
	s_bfe_u32 s24, ttmp6, 0x4000c
	s_and_b32 s4, ttmp6, 15
	s_add_co_i32 s24, s24, 1
	v_sub_nc_u32_e32 v19, s1, v18
	s_mul_i32 s28, ttmp9, s24
	s_xor_b32 s24, s0, -1
	s_add_co_i32 s4, s4, s28
	s_cmp_eq_u32 s5, 0
	v_cmp_gt_u32_e64 s1, 64, v8
	s_cselect_b32 s4, ttmp9, s4
	s_add_nc_u64 s[28:29], s[12:13], s[14:15]
	s_lshl_b32 s46, s4, 6
	s_delay_alu instid0(SALU_CYCLE_1) | instskip(SKIP_2) | instid1(VALU_DEP_2)
	v_dual_mov_b32 v11, v9 :: v_dual_bitop2_b32 v12, s46, v18 bitop3:0x54
	v_dual_lshrrev_b32 v10, 6, v8 :: v_dual_add_nc_u32 v6, s46, v8
	s_cmp_eq_u32 s26, 0
	v_ashrrev_i32_e32 v13, 31, v12
	s_delay_alu instid0(VALU_DEP_2)
	v_mul_u64_e32 v[0:1], s[36:37], v[10:11]
	v_mul_u64_e32 v[2:3], s[16:17], v[10:11]
	v_ashrrev_i32_e32 v7, 31, v6
	s_cselect_b32 s47, -1, 0
	v_lshlrev_b64_e32 v[4:5], 4, v[12:13]
	s_lshl_b64 s[4:5], s[16:17], 4
	v_mul_u64_e32 v[14:15], s[16:17], v[12:13]
	s_add_nc_u64 s[4:5], s[4:5], -16
	v_mul_u64_e32 v[16:17], s[48:49], v[6:7]
	v_add3_u32 v7, s26, s46, v18
	v_lshlrev_b32_e32 v11, 4, v8
	v_mad_nc_u64_u32 v[4:5], v10, s4, v[4:5]
	v_sub_nc_u32_e32 v8, v12, v10
	v_cmp_gt_i32_e64 s2, s25, v10
	v_sub_nc_u32_e32 v18, v7, v10
	v_subrev_nc_u32_e32 v13, s46, v19
	v_cmp_gt_i32_e64 s3, s25, v12
	s_lshl_b64 s[16:17], s[16:17], 8
	s_or_b32 s44, s34, s35
	v_cndmask_b32_e64 v19, v8, v18, s0
	s_lshl_b64 s[34:35], s[36:37], 8
	v_mad_u32 v5, v10, s5, v5
	s_lshl_b64 s[4:5], s[22:23], 4
	s_lshl_b64 s[22:23], s[38:39], 4
	s_add_nc_u64 s[4:5], s[20:21], s[4:5]
	s_mov_b64 s[20:21], 0xffffffffffffff00
	s_or_b32 s38, s24, s47
	s_add_nc_u64 s[20:21], s[16:17], s[20:21]
	v_lshl_add_u64 v[0:1], v[0:1], 4, s[4:5]
	s_delay_alu instid0(VALU_DEP_2)
	v_add_nc_u64_e32 v[4:5], s[12:13], v[4:5]
	v_lshl_add_u64 v[20:21], v[2:3], 4, s[12:13]
	v_cmp_gt_i32_e64 s4, s25, v6
	s_lshl_b64 s[12:13], s[18:19], 4
	v_add_nc_u64_e32 v[22:23], 8, v[0:1]
	v_add_nc_u64_e32 v[24:25], 8, v[20:21]
	;; [unrolled: 1-line block ×3, first 2 shown]
	s_branch .LBB3_7
.LBB3_6:                                ;   in Loop: Header=BB3_7 Depth=1
	s_wait_xcnt 0x0
	s_or_b32 exec_lo, exec_lo, s5
	s_add_co_i32 s6, s6, 0x10000
	s_delay_alu instid0(SALU_CYCLE_1)
	s_cmp_lt_u32 s6, s33
	s_cbranch_scc0 .LBB3_54
.LBB3_7:                                ; =>This Loop Header: Depth=1
                                        ;     Child Loop BB3_13 Depth 2
	s_and_not1_b32 vcc_lo, exec_lo, s27
	s_cbranch_vccnz .LBB3_39
; %bb.8:                                ;   in Loop: Header=BB3_7 Depth=1
	v_mov_b64_e32 v[2:3], 0
	v_mov_b64_e32 v[0:1], 0
	s_and_saveexec_b32 s39, s2
	s_cbranch_execz .LBB3_38
; %bb.9:                                ;   in Loop: Header=BB3_7 Depth=1
	v_mad_nc_u64_u32 v[4:5], s22, s6, v[22:23]
	s_mul_u64 s[46:47], s[18:19], s[6:7]
	s_mul_u64 s[36:37], s[12:13], s[6:7]
	s_lshl_b64 s[46:47], s[46:47], 4
	v_add_nc_u64_e32 v[6:7], s[36:37], v[24:25]
	v_add_nc_u64_e32 v[28:29], s[36:37], v[20:21]
	s_add_nc_u64 s[46:47], s[28:29], s[46:47]
	v_add_nc_u64_e32 v[30:31], s[36:37], v[26:27]
	v_mov_b64_e32 v[2:3], 0
	v_mov_b64_e32 v[0:1], 0
	v_lshl_add_u64 v[32:33], v[14:15], 4, s[46:47]
	v_mad_u32 v5, s23, s6, v5
	v_dual_mov_b32 v34, v18 :: v_dual_mov_b32 v42, v10
	s_mov_b64 s[36:37], 0
	s_mov_b32 s45, 0
	s_branch .LBB3_13
.LBB3_10:                               ;   in Loop: Header=BB3_13 Depth=2
	s_or_b32 exec_lo, exec_lo, s5
.LBB3_11:                               ;   in Loop: Header=BB3_13 Depth=2
	s_delay_alu instid0(SALU_CYCLE_1)
	s_or_b32 exec_lo, exec_lo, s47
.LBB3_12:                               ;   in Loop: Header=BB3_13 Depth=2
	s_delay_alu instid0(SALU_CYCLE_1) | instskip(SKIP_1) | instid1(VALU_DEP_3)
	s_or_b32 exec_lo, exec_lo, s46
	v_add_nc_u32_e32 v42, 16, v42
	v_add_nc_u64_e32 v[4:5], s[34:35], v[4:5]
	v_add_nc_u64_e32 v[6:7], s[16:17], v[6:7]
	;; [unrolled: 1-line block ×4, first 2 shown]
	v_cmp_le_i32_e32 vcc_lo, s25, v42
	v_add_nc_u32_e32 v34, -16, v34
	s_add_nc_u64 s[36:37], s[36:37], -16
	s_or_b32 s45, vcc_lo, s45
	s_delay_alu instid0(SALU_CYCLE_1)
	s_and_not1_b32 exec_lo, exec_lo, s45
	s_cbranch_execz .LBB3_37
.LBB3_13:                               ;   Parent Loop BB3_7 Depth=1
                                        ; =>  This Inner Loop Header: Depth=2
	s_and_saveexec_b32 s46, s3
	s_cbranch_execz .LBB3_12
; %bb.14:                               ;   in Loop: Header=BB3_13 Depth=2
	v_cmp_gt_i32_e32 vcc_lo, v12, v42
	v_cndmask_b32_e64 v8, 0, 1, vcc_lo
	v_cmp_lt_i32_e32 vcc_lo, v12, v42
	v_cndmask_b32_e64 v35, 0, 1, vcc_lo
	s_delay_alu instid0(VALU_DEP_1) | instskip(NEXT) | instid1(VALU_DEP_1)
	v_cndmask_b32_e64 v8, v35, v8, s0
	v_and_b32_e32 v8, 1, v8
	s_delay_alu instid0(VALU_DEP_1) | instskip(SKIP_1) | instid1(SALU_CYCLE_1)
	v_cmp_eq_u32_e32 vcc_lo, 1, v8
	s_xor_b32 s5, vcc_lo, -1
	s_and_saveexec_b32 s47, s5
	s_delay_alu instid0(SALU_CYCLE_1)
	s_xor_b32 s47, exec_lo, s47
	s_cbranch_execz .LBB3_34
; %bb.15:                               ;   in Loop: Header=BB3_13 Depth=2
	v_add_nc_u32_e32 v8, s36, v19
	s_delay_alu instid0(VALU_DEP_1) | instskip(SKIP_2) | instid1(SALU_CYCLE_1)
	v_cmp_le_i32_e32 vcc_lo, s26, v8
	v_cmp_gt_i32_e64 s5, 1, v8
	s_or_b32 s5, vcc_lo, s5
	s_and_saveexec_b32 s48, s5
	s_delay_alu instid0(SALU_CYCLE_1)
	s_xor_b32 s5, exec_lo, s48
	s_cbranch_execz .LBB3_31
; %bb.16:                               ;   in Loop: Header=BB3_13 Depth=2
	s_mov_b32 s48, exec_lo
	v_cmpx_ne_u32_e32 0, v8
	s_xor_b32 s48, exec_lo, s48
	s_cbranch_execz .LBB3_24
; %bb.17:                               ;   in Loop: Header=BB3_13 Depth=2
	s_mov_b32 s49, exec_lo
	v_cmpx_eq_u32_e64 s26, v8
	s_cbranch_execz .LBB3_23
; %bb.18:                               ;   in Loop: Header=BB3_13 Depth=2
	s_and_b32 vcc_lo, exec_lo, s24
	s_mov_b32 s53, -1
                                        ; implicit-def: $vgpr36_vgpr37
                                        ; implicit-def: $vgpr38_vgpr39
	s_cbranch_vccz .LBB3_20
; %bb.19:                               ;   in Loop: Header=BB3_13 Depth=2
	v_add_nc_u64_e32 v[40:41], s[14:15], v[30:31]
	s_mov_b32 s53, 0
	global_load_b128 v[36:39], v[4:5], off offset:-8
	global_load_b128 v[44:47], v[40:41], off offset:-8
	s_wait_loadcnt 0x0
	s_wait_xcnt 0x0
	v_mul_f64_e32 v[40:41], v[38:39], v[46:47]
	v_mul_f64_e32 v[46:47], v[36:37], v[46:47]
	s_delay_alu instid0(VALU_DEP_2) | instskip(NEXT) | instid1(VALU_DEP_2)
	v_fma_f64 v[36:37], v[36:37], v[44:45], -v[40:41]
	v_fmac_f64_e32 v[46:47], v[38:39], v[44:45]
	s_delay_alu instid0(VALU_DEP_2) | instskip(NEXT) | instid1(VALU_DEP_2)
	v_add_f64_e32 v[38:39], v[0:1], v[36:37]
	v_add_f64_e32 v[36:37], v[2:3], v[46:47]
.LBB3_20:                               ;   in Loop: Header=BB3_13 Depth=2
	s_and_not1_b32 vcc_lo, exec_lo, s53
	s_cbranch_vccnz .LBB3_22
; %bb.21:                               ;   in Loop: Header=BB3_13 Depth=2
	v_ashrrev_i32_e32 v35, 31, v34
	s_delay_alu instid0(VALU_DEP_1) | instskip(NEXT) | instid1(VALU_DEP_1)
	v_lshl_add_u64 v[36:37], v[34:35], 4, v[28:29]
	v_add_nc_u64_e32 v[40:41], s[14:15], v[36:37]
	global_load_b128 v[36:39], v[4:5], off offset:-8
	global_load_b64 v[44:45], v[40:41], off
	s_wait_loadcnt 0x0
	v_fmac_f64_e32 v[2:3], v[44:45], v[38:39]
	v_fmac_f64_e32 v[0:1], v[44:45], v[36:37]
	s_delay_alu instid0(VALU_DEP_2) | instskip(NEXT) | instid1(VALU_DEP_2)
	v_mov_b64_e32 v[36:37], v[2:3]
	v_mov_b64_e32 v[38:39], v[0:1]
.LBB3_22:                               ;   in Loop: Header=BB3_13 Depth=2
	s_delay_alu instid0(VALU_DEP_1) | instskip(NEXT) | instid1(VALU_DEP_2)
	v_mov_b64_e32 v[2:3], v[36:37]
	v_mov_b64_e32 v[0:1], v[38:39]
.LBB3_23:                               ;   in Loop: Header=BB3_13 Depth=2
	s_wait_xcnt 0x0
	s_or_b32 exec_lo, exec_lo, s49
.LBB3_24:                               ;   in Loop: Header=BB3_13 Depth=2
	s_and_not1_saveexec_b32 s48, s48
	s_cbranch_execz .LBB3_30
; %bb.25:                               ;   in Loop: Header=BB3_13 Depth=2
	v_add_nc_u64_e32 v[36:37], s[14:15], v[6:7]
	s_and_not1_b32 vcc_lo, exec_lo, s38
	s_mov_b32 s49, -1
                                        ; implicit-def: $vgpr40_vgpr41
                                        ; implicit-def: $vgpr38_vgpr39
	s_cbranch_vccnz .LBB3_27
; %bb.26:                               ;   in Loop: Header=BB3_13 Depth=2
	global_load_b64 v[44:45], v[36:37], off offset:-8
	global_load_b128 v[38:41], v[4:5], off offset:-8
	s_mov_b32 s49, 0
	s_wait_loadcnt 0x0
	v_fma_f64 v[38:39], v[44:45], v[38:39], v[0:1]
	v_fma_f64 v[40:41], v[44:45], v[40:41], v[2:3]
.LBB3_27:                               ;   in Loop: Header=BB3_13 Depth=2
	s_and_not1_b32 vcc_lo, exec_lo, s49
	s_cbranch_vccnz .LBB3_29
; %bb.28:                               ;   in Loop: Header=BB3_13 Depth=2
	global_load_b128 v[38:41], v[4:5], off offset:-8
	global_load_b128 v[44:47], v[36:37], off offset:-8
	s_wait_loadcnt 0x0
	s_wait_xcnt 0x0
	v_mul_f64_e32 v[36:37], v[40:41], v[46:47]
	v_mul_f64_e32 v[46:47], v[38:39], v[46:47]
	s_delay_alu instid0(VALU_DEP_2) | instskip(NEXT) | instid1(VALU_DEP_2)
	v_fma_f64 v[36:37], v[38:39], v[44:45], -v[36:37]
	v_fmac_f64_e32 v[46:47], v[40:41], v[44:45]
	s_delay_alu instid0(VALU_DEP_2) | instskip(NEXT) | instid1(VALU_DEP_2)
	v_add_f64_e32 v[38:39], v[0:1], v[36:37]
	v_add_f64_e32 v[40:41], v[2:3], v[46:47]
.LBB3_29:                               ;   in Loop: Header=BB3_13 Depth=2
	s_delay_alu instid0(VALU_DEP_1) | instskip(NEXT) | instid1(VALU_DEP_3)
	v_mov_b64_e32 v[2:3], v[40:41]
	v_mov_b64_e32 v[0:1], v[38:39]
.LBB3_30:                               ;   in Loop: Header=BB3_13 Depth=2
	s_wait_xcnt 0x0
	s_or_b32 exec_lo, exec_lo, s48
.LBB3_31:                               ;   in Loop: Header=BB3_13 Depth=2
	s_and_not1_saveexec_b32 s5, s5
	s_cbranch_execz .LBB3_33
; %bb.32:                               ;   in Loop: Header=BB3_13 Depth=2
	v_add_nc_u64_e32 v[36:37], s[14:15], v[6:7]
	s_delay_alu instid0(VALU_DEP_1)
	v_lshl_add_u64 v[40:41], v[8:9], 4, v[36:37]
	global_load_b128 v[36:39], v[4:5], off offset:-8
	global_load_b128 v[44:47], v[40:41], off offset:-8
	s_wait_loadcnt 0x0
	s_wait_xcnt 0x0
	v_mul_f64_e32 v[40:41], v[38:39], v[46:47]
	v_mul_f64_e32 v[46:47], v[36:37], v[46:47]
	s_delay_alu instid0(VALU_DEP_2) | instskip(NEXT) | instid1(VALU_DEP_2)
	v_fma_f64 v[36:37], v[36:37], v[44:45], -v[40:41]
	v_fmac_f64_e32 v[46:47], v[38:39], v[44:45]
	s_delay_alu instid0(VALU_DEP_2) | instskip(NEXT) | instid1(VALU_DEP_2)
	v_add_f64_e32 v[0:1], v[0:1], v[36:37]
	v_add_f64_e32 v[2:3], v[2:3], v[46:47]
.LBB3_33:                               ;   in Loop: Header=BB3_13 Depth=2
	s_or_b32 exec_lo, exec_lo, s5
.LBB3_34:                               ;   in Loop: Header=BB3_13 Depth=2
	s_and_not1_saveexec_b32 s47, s47
	s_cbranch_execz .LBB3_11
; %bb.35:                               ;   in Loop: Header=BB3_13 Depth=2
	v_add_nc_u32_e32 v8, v13, v42
	s_delay_alu instid0(VALU_DEP_1) | instskip(SKIP_2) | instid1(SALU_CYCLE_1)
	v_cmp_ge_i32_e32 vcc_lo, s26, v8
	v_cmp_lt_i32_e64 s5, -1, v8
	s_and_b32 s48, vcc_lo, s5
	s_and_saveexec_b32 s5, s48
	s_cbranch_execz .LBB3_10
; %bb.36:                               ;   in Loop: Header=BB3_13 Depth=2
	v_lshl_add_u64 v[40:41], v[8:9], 4, v[32:33]
	global_load_b128 v[36:39], v[4:5], off offset:-8
	global_load_b128 v[44:47], v[40:41], off
	s_wait_loadcnt 0x0
	s_wait_xcnt 0x0
	v_mul_f64_e32 v[40:41], v[46:47], v[38:39]
	v_mul_f64_e32 v[46:47], v[46:47], v[36:37]
	s_delay_alu instid0(VALU_DEP_2) | instskip(NEXT) | instid1(VALU_DEP_2)
	v_fmac_f64_e32 v[40:41], v[44:45], v[36:37]
	v_fma_f64 v[36:37], v[44:45], v[38:39], -v[46:47]
	s_delay_alu instid0(VALU_DEP_2) | instskip(NEXT) | instid1(VALU_DEP_2)
	v_add_f64_e32 v[0:1], v[0:1], v[40:41]
	v_add_f64_e32 v[2:3], v[2:3], v[36:37]
	s_branch .LBB3_10
.LBB3_37:                               ;   in Loop: Header=BB3_7 Depth=1
	s_or_b32 exec_lo, exec_lo, s45
.LBB3_38:                               ;   in Loop: Header=BB3_7 Depth=1
	s_delay_alu instid0(SALU_CYCLE_1)
	s_or_b32 exec_lo, exec_lo, s39
	ds_store_b128 v11, v[0:3]
	s_wait_dscnt 0x0
	s_barrier_signal -1
	s_barrier_wait -1
.LBB3_39:                               ;   in Loop: Header=BB3_7 Depth=1
	s_and_saveexec_b32 s5, s1
	s_cbranch_execz .LBB3_6
; %bb.40:                               ;   in Loop: Header=BB3_7 Depth=1
	s_mul_u64 s[36:37], s[50:51], s[6:7]
	s_and_b32 vcc_lo, exec_lo, s52
	s_lshl_b64 s[36:37], s[36:37], 4
	s_delay_alu instid0(SALU_CYCLE_1)
	s_add_nc_u64 s[36:37], s[30:31], s[36:37]
	s_cbranch_vccz .LBB3_46
; %bb.41:                               ;   in Loop: Header=BB3_7 Depth=1
	s_mov_b32 s45, 0
	s_mov_b32 s39, 0
                                        ; implicit-def: $vgpr2_vgpr3
	s_and_saveexec_b32 s46, s4
	s_delay_alu instid0(SALU_CYCLE_1)
	s_xor_b32 s46, exec_lo, s46
	s_cbranch_execz .LBB3_45
; %bb.42:                               ;   in Loop: Header=BB3_7 Depth=1
	v_mov_b64_e32 v[2:3], 0
	v_mov_b64_e32 v[0:1], 0
	s_and_not1_b32 vcc_lo, exec_lo, s44
	s_cbranch_vccnz .LBB3_44
; %bb.43:                               ;   in Loop: Header=BB3_7 Depth=1
	v_lshl_add_u64 v[0:1], v[16:17], 4, s[36:37]
	global_load_b128 v[4:7], v[0:1], off
	s_wait_loadcnt 0x0
	s_wait_xcnt 0x0
	v_mul_f64_e32 v[0:1], s[42:43], v[6:7]
	v_mul_f64_e32 v[2:3], s[40:41], v[6:7]
	s_delay_alu instid0(VALU_DEP_2) | instskip(NEXT) | instid1(VALU_DEP_2)
	v_fma_f64 v[0:1], s[40:41], v[4:5], -v[0:1]
	v_fmac_f64_e32 v[2:3], s[42:43], v[4:5]
.LBB3_44:                               ;   in Loop: Header=BB3_7 Depth=1
	s_mov_b32 s39, exec_lo
.LBB3_45:                               ;   in Loop: Header=BB3_7 Depth=1
	s_or_b32 exec_lo, exec_lo, s46
	s_delay_alu instid0(SALU_CYCLE_1)
	s_and_b32 vcc_lo, exec_lo, s45
	s_cbranch_vccnz .LBB3_47
	s_branch .LBB3_52
.LBB3_46:                               ;   in Loop: Header=BB3_7 Depth=1
	s_mov_b32 s39, 0
                                        ; implicit-def: $vgpr2_vgpr3
	s_cbranch_execz .LBB3_52
.LBB3_47:                               ;   in Loop: Header=BB3_7 Depth=1
	ds_load_b128 v[0:3], v11
	ds_load_b128 v[4:7], v11 offset:1024
	s_wait_dscnt 0x0
	v_add_f64_e32 v[28:29], v[0:1], v[4:5]
	v_add_f64_e32 v[30:31], v[2:3], v[6:7]
	ds_load_b128 v[0:3], v11 offset:2048
	ds_load_b128 v[4:7], v11 offset:3072
	s_wait_dscnt 0x1
	v_add_f64_e32 v[0:1], v[28:29], v[0:1]
	v_add_f64_e32 v[2:3], v[30:31], v[2:3]
	s_wait_dscnt 0x0
	s_delay_alu instid0(VALU_DEP_2) | instskip(NEXT) | instid1(VALU_DEP_2)
	v_add_f64_e32 v[28:29], v[0:1], v[4:5]
	v_add_f64_e32 v[30:31], v[2:3], v[6:7]
	ds_load_b128 v[0:3], v11 offset:4096
	ds_load_b128 v[4:7], v11 offset:5120
	s_wait_dscnt 0x1
	v_add_f64_e32 v[0:1], v[28:29], v[0:1]
	v_add_f64_e32 v[2:3], v[30:31], v[2:3]
	s_wait_dscnt 0x0
	s_delay_alu instid0(VALU_DEP_2) | instskip(NEXT) | instid1(VALU_DEP_2)
	;; [unrolled: 9-line block ×7, first 2 shown]
	v_add_f64_e32 v[4:5], v[0:1], v[4:5]
	v_add_f64_e32 v[6:7], v[2:3], v[6:7]
                                        ; implicit-def: $vgpr2_vgpr3
	ds_store_b128 v11, v[4:7]
	s_and_saveexec_b32 s45, s4
	s_cbranch_execz .LBB3_51
; %bb.48:                               ;   in Loop: Header=BB3_7 Depth=1
	v_mul_f64_e32 v[0:1], s[10:11], v[6:7]
	v_mul_f64_e32 v[2:3], s[8:9], v[6:7]
	s_and_not1_b32 vcc_lo, exec_lo, s44
	s_delay_alu instid0(VALU_DEP_2) | instskip(NEXT) | instid1(VALU_DEP_2)
	v_fma_f64 v[0:1], s[8:9], v[4:5], -v[0:1]
	v_fmac_f64_e32 v[2:3], s[10:11], v[4:5]
	s_cbranch_vccnz .LBB3_50
; %bb.49:                               ;   in Loop: Header=BB3_7 Depth=1
	v_lshl_add_u64 v[4:5], v[16:17], 4, s[36:37]
	global_load_b128 v[4:7], v[4:5], off
	s_wait_loadcnt 0x0
	v_mul_f64_e32 v[28:29], s[42:43], v[6:7]
	v_mul_f64_e32 v[6:7], s[40:41], v[6:7]
	s_delay_alu instid0(VALU_DEP_2) | instskip(NEXT) | instid1(VALU_DEP_2)
	v_fma_f64 v[28:29], s[40:41], v[4:5], -v[28:29]
	v_fmac_f64_e32 v[6:7], s[42:43], v[4:5]
	s_delay_alu instid0(VALU_DEP_2) | instskip(NEXT) | instid1(VALU_DEP_2)
	v_add_f64_e32 v[0:1], v[0:1], v[28:29]
	v_add_f64_e32 v[2:3], v[2:3], v[6:7]
.LBB3_50:                               ;   in Loop: Header=BB3_7 Depth=1
	s_or_b32 s39, s39, exec_lo
.LBB3_51:                               ;   in Loop: Header=BB3_7 Depth=1
	s_wait_xcnt 0x0
	s_or_b32 exec_lo, exec_lo, s45
.LBB3_52:                               ;   in Loop: Header=BB3_7 Depth=1
	s_delay_alu instid0(SALU_CYCLE_1)
	s_and_b32 exec_lo, exec_lo, s39
	s_cbranch_execz .LBB3_6
; %bb.53:                               ;   in Loop: Header=BB3_7 Depth=1
	v_lshl_add_u64 v[4:5], v[16:17], 4, s[36:37]
	global_store_b128 v[4:5], v[0:3], off
	s_branch .LBB3_6
.LBB3_54:
	s_endpgm
	.section	.rodata,"a",@progbits
	.p2align	6, 0x0
	.amdhsa_kernel _ZL20rocblas_hbmvn_kernelILi64ELi16E19rocblas_complex_numIdEPKS1_PS1_EvbiiT1_T2_lllS6_lllS5_T3_llli
		.amdhsa_group_segment_fixed_size 16384
		.amdhsa_private_segment_fixed_size 0
		.amdhsa_kernarg_size 408
		.amdhsa_user_sgpr_count 2
		.amdhsa_user_sgpr_dispatch_ptr 0
		.amdhsa_user_sgpr_queue_ptr 0
		.amdhsa_user_sgpr_kernarg_segment_ptr 1
		.amdhsa_user_sgpr_dispatch_id 0
		.amdhsa_user_sgpr_kernarg_preload_length 0
		.amdhsa_user_sgpr_kernarg_preload_offset 0
		.amdhsa_user_sgpr_private_segment_size 0
		.amdhsa_wavefront_size32 1
		.amdhsa_uses_dynamic_stack 0
		.amdhsa_enable_private_segment 0
		.amdhsa_system_sgpr_workgroup_id_x 1
		.amdhsa_system_sgpr_workgroup_id_y 0
		.amdhsa_system_sgpr_workgroup_id_z 1
		.amdhsa_system_sgpr_workgroup_info 0
		.amdhsa_system_vgpr_workitem_id 1
		.amdhsa_next_free_vgpr 48
		.amdhsa_next_free_sgpr 54
		.amdhsa_named_barrier_count 0
		.amdhsa_reserve_vcc 1
		.amdhsa_float_round_mode_32 0
		.amdhsa_float_round_mode_16_64 0
		.amdhsa_float_denorm_mode_32 3
		.amdhsa_float_denorm_mode_16_64 3
		.amdhsa_fp16_overflow 0
		.amdhsa_memory_ordered 1
		.amdhsa_forward_progress 1
		.amdhsa_inst_pref_size 18
		.amdhsa_round_robin_scheduling 0
		.amdhsa_exception_fp_ieee_invalid_op 0
		.amdhsa_exception_fp_denorm_src 0
		.amdhsa_exception_fp_ieee_div_zero 0
		.amdhsa_exception_fp_ieee_overflow 0
		.amdhsa_exception_fp_ieee_underflow 0
		.amdhsa_exception_fp_ieee_inexact 0
		.amdhsa_exception_int_div_zero 0
	.end_amdhsa_kernel
	.section	.text._ZL20rocblas_hbmvn_kernelILi64ELi16E19rocblas_complex_numIdEPKS1_PS1_EvbiiT1_T2_lllS6_lllS5_T3_llli,"axG",@progbits,_ZL20rocblas_hbmvn_kernelILi64ELi16E19rocblas_complex_numIdEPKS1_PS1_EvbiiT1_T2_lllS6_lllS5_T3_llli,comdat
.Lfunc_end3:
	.size	_ZL20rocblas_hbmvn_kernelILi64ELi16E19rocblas_complex_numIdEPKS1_PS1_EvbiiT1_T2_lllS6_lllS5_T3_llli, .Lfunc_end3-_ZL20rocblas_hbmvn_kernelILi64ELi16E19rocblas_complex_numIdEPKS1_PS1_EvbiiT1_T2_lllS6_lllS5_T3_llli
                                        ; -- End function
	.set _ZL20rocblas_hbmvn_kernelILi64ELi16E19rocblas_complex_numIdEPKS1_PS1_EvbiiT1_T2_lllS6_lllS5_T3_llli.num_vgpr, 48
	.set _ZL20rocblas_hbmvn_kernelILi64ELi16E19rocblas_complex_numIdEPKS1_PS1_EvbiiT1_T2_lllS6_lllS5_T3_llli.num_agpr, 0
	.set _ZL20rocblas_hbmvn_kernelILi64ELi16E19rocblas_complex_numIdEPKS1_PS1_EvbiiT1_T2_lllS6_lllS5_T3_llli.numbered_sgpr, 54
	.set _ZL20rocblas_hbmvn_kernelILi64ELi16E19rocblas_complex_numIdEPKS1_PS1_EvbiiT1_T2_lllS6_lllS5_T3_llli.num_named_barrier, 0
	.set _ZL20rocblas_hbmvn_kernelILi64ELi16E19rocblas_complex_numIdEPKS1_PS1_EvbiiT1_T2_lllS6_lllS5_T3_llli.private_seg_size, 0
	.set _ZL20rocblas_hbmvn_kernelILi64ELi16E19rocblas_complex_numIdEPKS1_PS1_EvbiiT1_T2_lllS6_lllS5_T3_llli.uses_vcc, 1
	.set _ZL20rocblas_hbmvn_kernelILi64ELi16E19rocblas_complex_numIdEPKS1_PS1_EvbiiT1_T2_lllS6_lllS5_T3_llli.uses_flat_scratch, 0
	.set _ZL20rocblas_hbmvn_kernelILi64ELi16E19rocblas_complex_numIdEPKS1_PS1_EvbiiT1_T2_lllS6_lllS5_T3_llli.has_dyn_sized_stack, 0
	.set _ZL20rocblas_hbmvn_kernelILi64ELi16E19rocblas_complex_numIdEPKS1_PS1_EvbiiT1_T2_lllS6_lllS5_T3_llli.has_recursion, 0
	.set _ZL20rocblas_hbmvn_kernelILi64ELi16E19rocblas_complex_numIdEPKS1_PS1_EvbiiT1_T2_lllS6_lllS5_T3_llli.has_indirect_call, 0
	.section	.AMDGPU.csdata,"",@progbits
; Kernel info:
; codeLenInByte = 2204
; TotalNumSgprs: 56
; NumVgprs: 48
; ScratchSize: 0
; MemoryBound: 1
; FloatMode: 240
; IeeeMode: 1
; LDSByteSize: 16384 bytes/workgroup (compile time only)
; SGPRBlocks: 0
; VGPRBlocks: 2
; NumSGPRsForWavesPerEU: 56
; NumVGPRsForWavesPerEU: 48
; NamedBarCnt: 0
; Occupancy: 16
; WaveLimiterHint : 0
; COMPUTE_PGM_RSRC2:SCRATCH_EN: 0
; COMPUTE_PGM_RSRC2:USER_SGPR: 2
; COMPUTE_PGM_RSRC2:TRAP_HANDLER: 0
; COMPUTE_PGM_RSRC2:TGID_X_EN: 1
; COMPUTE_PGM_RSRC2:TGID_Y_EN: 0
; COMPUTE_PGM_RSRC2:TGID_Z_EN: 1
; COMPUTE_PGM_RSRC2:TIDIG_COMP_CNT: 1
	.section	.text._ZL20rocblas_hbmvn_kernelILi64ELi16EPK19rocblas_complex_numIfEPKS3_PKPS1_EvbiiT1_T2_lllSA_lllS9_T3_llli,"axG",@progbits,_ZL20rocblas_hbmvn_kernelILi64ELi16EPK19rocblas_complex_numIfEPKS3_PKPS1_EvbiiT1_T2_lllSA_lllS9_T3_llli,comdat
	.globl	_ZL20rocblas_hbmvn_kernelILi64ELi16EPK19rocblas_complex_numIfEPKS3_PKPS1_EvbiiT1_T2_lllSA_lllS9_T3_llli ; -- Begin function _ZL20rocblas_hbmvn_kernelILi64ELi16EPK19rocblas_complex_numIfEPKS3_PKPS1_EvbiiT1_T2_lllSA_lllS9_T3_llli
	.p2align	8
	.type	_ZL20rocblas_hbmvn_kernelILi64ELi16EPK19rocblas_complex_numIfEPKS3_PKPS1_EvbiiT1_T2_lllSA_lllS9_T3_llli,@function
_ZL20rocblas_hbmvn_kernelILi64ELi16EPK19rocblas_complex_numIfEPKS3_PKPS1_EvbiiT1_T2_lllSA_lllS9_T3_llli: ; @_ZL20rocblas_hbmvn_kernelILi64ELi16EPK19rocblas_complex_numIfEPKS3_PKPS1_EvbiiT1_T2_lllSA_lllS9_T3_llli
; %bb.0:
	s_load_b64 s[2:3], s[0:1], 0x94
	s_wait_kmcnt 0x0
	s_lshr_b32 s4, s2, 16
	s_and_b32 s2, s2, 0xffff
	s_and_b32 s3, s3, 0xffff
	s_mul_i32 s4, s4, s2
	s_delay_alu instid0(SALU_CYCLE_1) | instskip(NEXT) | instid1(SALU_CYCLE_1)
	s_mul_i32 s4, s4, s3
	s_cmp_lg_u32 s4, 0x400
	s_cbranch_scc1 .LBB4_59
; %bb.1:
	s_clause 0x1
	s_load_b256 s[4:11], s[0:1], 0x10
	s_load_b256 s[12:19], s[0:1], 0x58
	s_bfe_u32 s3, ttmp6, 0x40014
	s_wait_kmcnt 0x0
	s_load_b64 s[28:29], s[4:5], 0x0
	s_load_b32 s27, s[0:1], 0x80
	s_wait_xcnt 0x0
	s_lshr_b32 s4, ttmp7, 16
	s_add_co_i32 s3, s3, 1
	s_load_b64 s[30:31], s[12:13], 0x0
	s_bfe_u32 s5, ttmp6, 0x40008
	s_mul_i32 s20, s4, s3
	s_getreg_b32 s3, hwreg(HW_REG_IB_STS2, 6, 4)
	s_add_co_i32 s5, s5, s20
	s_cmp_eq_u32 s3, 0
	s_wait_xcnt 0x0
	s_cselect_b32 s12, s4, s5
	s_wait_kmcnt 0x0
	s_cmp_neq_f32 s28, 0
	s_cselect_b32 s4, -1, 0
	s_cmp_neq_f32 s29, 0
	s_cselect_b32 s5, -1, 0
	s_delay_alu instid0(SALU_CYCLE_1) | instskip(NEXT) | instid1(SALU_CYCLE_1)
	s_or_b32 s4, s4, s5
	s_and_b32 vcc_lo, exec_lo, s4
	s_mov_b32 s4, 0
	s_cbranch_vccnz .LBB4_3
; %bb.2:
	s_cmp_neq_f32 s30, 1.0
	s_cselect_b32 s4, -1, 0
	s_cmp_neq_f32 s31, 0
	s_cselect_b32 s5, -1, 0
	s_delay_alu instid0(SALU_CYCLE_1) | instskip(SKIP_2) | instid1(SALU_CYCLE_1)
	s_or_b32 s4, s4, s5
	s_cmp_lt_u32 s12, s27
	s_cselect_b32 s13, -1, 0
	s_and_b32 s4, s4, s13
	s_cbranch_execz .LBB4_4
	s_branch .LBB4_6
.LBB4_3:
.LBB4_4:
	s_cmp_lt_u32 s12, s27
	s_cbranch_scc0 .LBB4_6
; %bb.5:
	s_mov_b32 s4, -1
.LBB4_6:
	s_delay_alu instid0(SALU_CYCLE_1)
	s_and_b32 vcc_lo, exec_lo, s4
	s_cbranch_vccz .LBB4_59
; %bb.7:
	s_clause 0x2
	s_load_b96 s[24:26], s[0:1], 0x0
	s_load_b128 s[20:23], s[0:1], 0x38
	s_load_b64 s[36:37], s[0:1], 0x48
	v_and_b32_e32 v2, 0x3ff, v0
	v_bfe_u32 v0, v0, 10, 10
	s_mov_b32 s13, 0
	s_delay_alu instid0(VALU_DEP_1) | instskip(NEXT) | instid1(VALU_DEP_1)
	v_mad_u32_u24 v0, v0, s2, v2
	v_dual_mov_b32 v1, 0 :: v_dual_lshrrev_b32 v2, 6, v0
	s_delay_alu instid0(VALU_DEP_1) | instskip(NEXT) | instid1(VALU_DEP_1)
	v_dual_mov_b32 v3, v1 :: v_dual_bitop2_b32 v18, 63, v0 bitop3:0x40
	v_mul_u64_e32 v[14:15], s[10:11], v[2:3]
	s_wait_kmcnt 0x0
	s_bitcmp1_b32 s24, 0
	v_mul_u64_e32 v[12:13], s[36:37], v[2:3]
	s_cselect_b32 s0, -1, 0
	s_delay_alu instid0(SALU_CYCLE_1) | instskip(SKIP_4) | instid1(SALU_CYCLE_1)
	s_and_b32 s1, s0, exec_lo
	s_cselect_b32 s5, s26, 0
	s_or_b32 s1, s28, s29
	s_xor_b32 s24, s0, -1
	s_bitset0_b32 s1, 31
	s_cmp_lg_u32 s1, 0
	s_cselect_b32 s33, -1, 0
	s_cmp_eq_u32 s1, 0
	s_cselect_b32 s40, -1, 0
	s_bfe_u32 s1, ttmp6, 0x4000c
	s_and_b32 s2, ttmp6, 15
	s_add_co_i32 s1, s1, 1
	s_delay_alu instid0(SALU_CYCLE_1) | instskip(NEXT) | instid1(SALU_CYCLE_1)
	s_mul_i32 s1, ttmp9, s1
	s_add_co_i32 s2, s2, s1
	s_cmp_eq_u32 s3, 0
	v_cmp_gt_u32_e64 s1, 64, v0
	s_cselect_b32 s2, ttmp9, s2
	s_delay_alu instid0(SALU_CYCLE_1) | instskip(NEXT) | instid1(SALU_CYCLE_1)
	s_lshl_b32 s43, s2, 6
	v_dual_lshlrev_b32 v36, 3, v0 :: v_dual_bitop2_b32 v4, s43, v18 bitop3:0x54
	v_dual_add_nc_u32 v10, s43, v0 :: v_dual_sub_nc_u32 v0, s5, v18
	s_cmp_eq_u32 s26, 0
	v_lshlrev_b64_e32 v[12:13], 3, v[12:13]
	s_cselect_b32 s3, -1, 0
	s_delay_alu instid0(VALU_DEP_2) | instskip(SKIP_3) | instid1(VALU_DEP_2)
	v_dual_ashrrev_i32 v5, 31, v4 :: v_dual_ashrrev_i32 v11, 31, v10
	s_or_b32 s41, s24, s3
	s_cmp_neq_f32 s30, 0
	v_cmp_gt_i32_e64 s4, s25, v10
	v_mul_u64_e32 v[6:7], s[10:11], v[4:5]
	v_mul_u64_e32 v[8:9], s[18:19], v[10:11]
	s_cselect_b32 s34, -1, 0
	s_cmp_neq_f32 s31, 0
	v_lshlrev_b64_e32 v[16:17], 3, v[4:5]
	v_subrev_nc_u32_e32 v3, s43, v0
	v_add3_u32 v0, s26, s43, v18
	s_cselect_b32 s35, -1, 0
	s_lshl_b64 s[18:19], s[10:11], 3
	v_lshlrev_b64_e32 v[14:15], 3, v[14:15]
	s_add_nc_u64 s[38:39], s[18:19], -8
	v_cmp_gt_i32_e64 s2, s25, v2
	v_mad_nc_u64_u32 v[10:11], v2, s38, v[16:17]
	v_cmp_gt_i32_e64 s3, s25, v4
	v_sub_nc_u32_e32 v5, v0, v2
	v_sub_nc_u32_e32 v37, v4, v2
	s_lshl_b64 s[10:11], s[10:11], 7
	s_or_b32 s42, s34, s35
	s_mov_b32 s18, s31
	s_mov_b32 s19, s30
	;; [unrolled: 1-line block ×4, first 2 shown]
	s_lshl_b64 s[36:37], s[36:37], 7
	v_mad_u32 v11, v2, s39, v11
	s_mov_b64 s[38:39], 0xffffffffffffff80
	s_lshl_b64 s[8:9], s[8:9], 3
	s_add_nc_u64 s[38:39], s[10:11], s[38:39]
	s_lshl_b64 s[22:23], s[22:23], 3
	s_lshl_b64 s[16:17], s[16:17], 3
	s_branch .LBB4_10
.LBB4_8:                                ;   in Loop: Header=BB4_10 Depth=1
	s_delay_alu instid0(VALU_DEP_1)
	v_mov_b32_e32 v19, v21
	flat_store_b64 v[16:17], v[18:19]
.LBB4_9:                                ;   in Loop: Header=BB4_10 Depth=1
	s_wait_xcnt 0x0
	s_or_b32 exec_lo, exec_lo, s5
	s_add_co_i32 s12, s12, 0x10000
	s_delay_alu instid0(SALU_CYCLE_1)
	s_cmp_lt_u32 s12, s27
	s_cbranch_scc0 .LBB4_59
.LBB4_10:                               ; =>This Loop Header: Depth=1
                                        ;     Child Loop BB4_20 Depth 2
	s_and_not1_b32 vcc_lo, exec_lo, s40
	s_mov_b32 s5, -1
	s_cbranch_vccz .LBB4_44
; %bb.11:                               ;   in Loop: Header=BB4_10 Depth=1
	v_mov_b64_e32 v[24:25], 0
	v_mov_b64_e32 v[18:19], 0
	s_and_not1_b32 vcc_lo, exec_lo, s5
	s_cbranch_vccz .LBB4_45
.LBB4_12:                               ;   in Loop: Header=BB4_10 Depth=1
	s_and_not1_b32 vcc_lo, exec_lo, s33
	s_cbranch_vccnz .LBB4_14
.LBB4_13:                               ;   in Loop: Header=BB4_10 Depth=1
	s_wait_xcnt 0x0
	s_lshl_b64 s[44:45], s[12:13], 3
	s_delay_alu instid0(SALU_CYCLE_1)
	s_add_nc_u64 s[44:45], s[20:21], s[44:45]
	s_wait_loadcnt 0x0
	global_load_b64 v[16:17], v1, s[44:45]
	s_wait_loadcnt 0x0
	v_add_nc_u64_e32 v[24:25], s[22:23], v[16:17]
.LBB4_14:                               ;   in Loop: Header=BB4_10 Depth=1
	s_wait_xcnt 0x0
	s_lshl_b64 s[44:45], s[12:13], 3
	s_and_not1_b32 vcc_lo, exec_lo, s33
	s_add_nc_u64 s[44:45], s[14:15], s[44:45]
	s_wait_loadcnt 0x0
	global_load_b64 v[16:17], v1, s[44:45]
	s_cbranch_vccnz .LBB4_48
; %bb.15:                               ;   in Loop: Header=BB4_10 Depth=1
	v_dual_mov_b32 v21, 0 :: v_dual_mov_b32 v20, 0
	s_wait_xcnt 0x0
	s_and_saveexec_b32 s43, s2
	s_cbranch_execz .LBB4_47
; %bb.16:                               ;   in Loop: Header=BB4_10 Depth=1
	v_add_nc_u64_e32 v[24:25], v[24:25], v[12:13]
	v_mov_b64_e32 v[20:21], 0
	v_mov_b64_e32 v[26:27], v[10:11]
	v_mov_b64_e32 v[30:31], v[14:15]
	v_lshl_add_u64 v[22:23], v[6:7], 3, v[18:19]
	v_dual_mov_b32 v38, v37 :: v_dual_mov_b32 v28, v5
	v_mov_b32_e32 v39, v2
	s_mov_b32 s44, 0
	s_branch .LBB4_20
.LBB4_17:                               ;   in Loop: Header=BB4_20 Depth=2
	s_wait_xcnt 0x0
	s_or_b32 exec_lo, exec_lo, s5
.LBB4_18:                               ;   in Loop: Header=BB4_20 Depth=2
	s_delay_alu instid0(SALU_CYCLE_1)
	s_or_b32 exec_lo, exec_lo, s46
.LBB4_19:                               ;   in Loop: Header=BB4_20 Depth=2
	s_delay_alu instid0(SALU_CYCLE_1) | instskip(SKIP_4) | instid1(VALU_DEP_4)
	s_or_b32 exec_lo, exec_lo, s45
	v_dual_add_nc_u32 v39, 16, v39 :: v_dual_add_nc_u32 v28, -16, v28
	v_add_nc_u64_e32 v[24:25], s[36:37], v[24:25]
	v_add_nc_u64_e32 v[30:31], s[10:11], v[30:31]
	;; [unrolled: 1-line block ×3, first 2 shown]
	v_cmp_le_i32_e32 vcc_lo, s25, v39
	v_add_nc_u32_e32 v38, -16, v38
	s_or_b32 s44, vcc_lo, s44
	s_delay_alu instid0(SALU_CYCLE_1)
	s_and_not1_b32 exec_lo, exec_lo, s44
	s_cbranch_execz .LBB4_46
.LBB4_20:                               ;   Parent Loop BB4_10 Depth=1
                                        ; =>  This Inner Loop Header: Depth=2
	s_and_saveexec_b32 s45, s3
	s_cbranch_execz .LBB4_19
; %bb.21:                               ;   in Loop: Header=BB4_20 Depth=2
	v_cmp_gt_i32_e32 vcc_lo, v4, v39
	v_cndmask_b32_e64 v0, 0, 1, vcc_lo
	v_cmp_lt_i32_e32 vcc_lo, v4, v39
	v_cndmask_b32_e64 v29, 0, 1, vcc_lo
	s_delay_alu instid0(VALU_DEP_1) | instskip(NEXT) | instid1(VALU_DEP_1)
	v_cndmask_b32_e64 v0, v29, v0, s0
	v_and_b32_e32 v0, 1, v0
	s_delay_alu instid0(VALU_DEP_1) | instskip(SKIP_1) | instid1(SALU_CYCLE_1)
	v_cmp_eq_u32_e32 vcc_lo, 1, v0
	s_xor_b32 s5, vcc_lo, -1
	s_and_saveexec_b32 s46, s5
	s_delay_alu instid0(SALU_CYCLE_1)
	s_xor_b32 s46, exec_lo, s46
	s_cbranch_execz .LBB4_41
; %bb.22:                               ;   in Loop: Header=BB4_20 Depth=2
	v_add_nc_u32_e32 v0, s26, v38
	s_delay_alu instid0(VALU_DEP_1) | instskip(NEXT) | instid1(VALU_DEP_1)
	v_cndmask_b32_e64 v0, v38, v0, s0
	v_cmp_le_i32_e32 vcc_lo, s26, v0
	v_cmp_gt_i32_e64 s5, 1, v0
	s_or_b32 s5, vcc_lo, s5
	s_delay_alu instid0(SALU_CYCLE_1) | instskip(NEXT) | instid1(SALU_CYCLE_1)
	s_and_saveexec_b32 s47, s5
	s_xor_b32 s5, exec_lo, s47
	s_cbranch_execz .LBB4_38
; %bb.23:                               ;   in Loop: Header=BB4_20 Depth=2
	s_mov_b32 s47, exec_lo
	v_cmpx_ne_u32_e32 0, v0
	s_xor_b32 s47, exec_lo, s47
	s_cbranch_execz .LBB4_31
; %bb.24:                               ;   in Loop: Header=BB4_20 Depth=2
	s_mov_b32 s48, exec_lo
	v_cmpx_eq_u32_e64 s26, v0
	s_cbranch_execz .LBB4_30
; %bb.25:                               ;   in Loop: Header=BB4_20 Depth=2
	s_and_b32 vcc_lo, exec_lo, s24
	s_mov_b32 s49, -1
                                        ; implicit-def: $vgpr32_vgpr33
	s_cbranch_vccz .LBB4_27
; %bb.26:                               ;   in Loop: Header=BB4_20 Depth=2
	v_add_nc_u64_e32 v[32:33], v[18:19], v[26:27]
	s_mov_b32 s49, 0
	flat_load_b64 v[34:35], v[32:33]
	flat_load_b64 v[40:41], v[24:25]
	s_wait_loadcnt_dscnt 0x0
	s_wait_xcnt 0x1
	v_pk_mul_f32 v[32:33], v[40:41], v[34:35] op_sel:[1,1] op_sel_hi:[0,1]
	s_delay_alu instid0(VALU_DEP_1) | instskip(SKIP_1) | instid1(VALU_DEP_2)
	v_pk_fma_f32 v[42:43], v[40:41], v[34:35], v[32:33] op_sel_hi:[1,0,1]
	v_pk_fma_f32 v[32:33], v[40:41], v[34:35], v[32:33] neg_lo:[0,0,1] neg_hi:[0,0,1]
	v_mov_b32_e32 v33, v43
	s_delay_alu instid0(VALU_DEP_1)
	v_pk_add_f32 v[32:33], v[20:21], v[32:33]
.LBB4_27:                               ;   in Loop: Header=BB4_20 Depth=2
	s_and_not1_b32 vcc_lo, exec_lo, s49
	s_cbranch_vccnz .LBB4_29
; %bb.28:                               ;   in Loop: Header=BB4_20 Depth=2
	v_ashrrev_i32_e32 v29, 31, v28
	s_delay_alu instid0(VALU_DEP_1) | instskip(NEXT) | instid1(VALU_DEP_1)
	v_lshl_add_u64 v[32:33], v[28:29], 3, v[30:31]
	v_add_nc_u64_e32 v[32:33], v[18:19], v[32:33]
	flat_load_b32 v0, v[32:33]
	flat_load_b64 v[34:35], v[24:25]
	s_wait_loadcnt_dscnt 0x0
	s_wait_xcnt 0x1
	v_pk_fma_f32 v[32:33], v[0:1], v[34:35], v[20:21] op_sel_hi:[0,1,1]
.LBB4_29:                               ;   in Loop: Header=BB4_20 Depth=2
	s_delay_alu instid0(VALU_DEP_1)
	v_mov_b64_e32 v[20:21], v[32:33]
.LBB4_30:                               ;   in Loop: Header=BB4_20 Depth=2
	s_wait_xcnt 0x0
	s_or_b32 exec_lo, exec_lo, s48
.LBB4_31:                               ;   in Loop: Header=BB4_20 Depth=2
	s_and_not1_saveexec_b32 s47, s47
	s_cbranch_execz .LBB4_37
; %bb.32:                               ;   in Loop: Header=BB4_20 Depth=2
	v_add_nc_u64_e32 v[32:33], v[18:19], v[30:31]
	s_and_not1_b32 vcc_lo, exec_lo, s41
	s_mov_b32 s48, -1
                                        ; implicit-def: $vgpr34_vgpr35
	s_cbranch_vccnz .LBB4_34
; %bb.33:                               ;   in Loop: Header=BB4_20 Depth=2
	flat_load_b32 v0, v[32:33]
	flat_load_b64 v[34:35], v[24:25]
	s_mov_b32 s48, 0
	s_wait_loadcnt_dscnt 0x0
	v_pk_fma_f32 v[34:35], v[0:1], v[34:35], v[20:21] op_sel_hi:[0,1,1]
.LBB4_34:                               ;   in Loop: Header=BB4_20 Depth=2
	s_and_not1_b32 vcc_lo, exec_lo, s48
	s_cbranch_vccnz .LBB4_36
; %bb.35:                               ;   in Loop: Header=BB4_20 Depth=2
	flat_load_b64 v[34:35], v[32:33]
	flat_load_b64 v[40:41], v[24:25]
	s_wait_loadcnt_dscnt 0x0
	s_wait_xcnt 0x1
	v_pk_mul_f32 v[32:33], v[40:41], v[34:35] op_sel:[1,1] op_sel_hi:[0,1]
	s_delay_alu instid0(VALU_DEP_1) | instskip(SKIP_1) | instid1(VALU_DEP_2)
	v_pk_fma_f32 v[42:43], v[40:41], v[34:35], v[32:33] op_sel_hi:[1,0,1]
	v_pk_fma_f32 v[32:33], v[40:41], v[34:35], v[32:33] neg_lo:[0,0,1] neg_hi:[0,0,1]
	v_mov_b32_e32 v33, v43
	s_delay_alu instid0(VALU_DEP_1)
	v_pk_add_f32 v[34:35], v[20:21], v[32:33]
.LBB4_36:                               ;   in Loop: Header=BB4_20 Depth=2
	s_delay_alu instid0(VALU_DEP_1)
	v_mov_b64_e32 v[20:21], v[34:35]
.LBB4_37:                               ;   in Loop: Header=BB4_20 Depth=2
	s_wait_xcnt 0x0
	s_or_b32 exec_lo, exec_lo, s47
.LBB4_38:                               ;   in Loop: Header=BB4_20 Depth=2
	s_and_not1_saveexec_b32 s5, s5
	s_cbranch_execz .LBB4_40
; %bb.39:                               ;   in Loop: Header=BB4_20 Depth=2
	v_lshl_add_u64 v[32:33], v[0:1], 3, v[30:31]
	s_delay_alu instid0(VALU_DEP_1)
	v_add_nc_u64_e32 v[32:33], v[18:19], v[32:33]
	flat_load_b64 v[34:35], v[32:33]
	flat_load_b64 v[40:41], v[24:25]
	s_wait_loadcnt_dscnt 0x0
	s_wait_xcnt 0x1
	v_pk_mul_f32 v[32:33], v[40:41], v[34:35] op_sel:[1,1] op_sel_hi:[0,1]
	s_delay_alu instid0(VALU_DEP_1) | instskip(SKIP_1) | instid1(VALU_DEP_2)
	v_pk_fma_f32 v[42:43], v[40:41], v[34:35], v[32:33] op_sel_hi:[1,0,1]
	v_pk_fma_f32 v[32:33], v[40:41], v[34:35], v[32:33] neg_lo:[0,0,1] neg_hi:[0,0,1]
	v_mov_b32_e32 v33, v43
	s_delay_alu instid0(VALU_DEP_1)
	v_pk_add_f32 v[20:21], v[20:21], v[32:33]
.LBB4_40:                               ;   in Loop: Header=BB4_20 Depth=2
	s_wait_xcnt 0x0
	s_or_b32 exec_lo, exec_lo, s5
.LBB4_41:                               ;   in Loop: Header=BB4_20 Depth=2
	s_and_not1_saveexec_b32 s46, s46
	s_cbranch_execz .LBB4_18
; %bb.42:                               ;   in Loop: Header=BB4_20 Depth=2
	v_add_nc_u32_e32 v0, v3, v39
	s_delay_alu instid0(VALU_DEP_1) | instskip(SKIP_2) | instid1(SALU_CYCLE_1)
	v_cmp_ge_i32_e32 vcc_lo, s26, v0
	v_cmp_lt_i32_e64 s5, -1, v0
	s_and_b32 s47, vcc_lo, s5
	s_and_saveexec_b32 s5, s47
	s_cbranch_execz .LBB4_17
; %bb.43:                               ;   in Loop: Header=BB4_20 Depth=2
	v_lshl_add_u64 v[32:33], v[0:1], 3, v[22:23]
	flat_load_b64 v[34:35], v[32:33]
	flat_load_b64 v[40:41], v[24:25]
	s_wait_loadcnt_dscnt 0x0
	s_wait_xcnt 0x1
	v_pk_mul_f32 v[32:33], v[34:35], v[40:41] op_sel:[1,1] op_sel_hi:[1,0]
	s_delay_alu instid0(VALU_DEP_1) | instskip(SKIP_1) | instid1(VALU_DEP_2)
	v_pk_fma_f32 v[42:43], v[34:35], v[40:41], v[32:33] op_sel_hi:[0,1,1] neg_lo:[0,0,1] neg_hi:[0,0,1]
	v_pk_fma_f32 v[32:33], v[34:35], v[40:41], v[32:33]
	v_mov_b32_e32 v33, v43
	s_delay_alu instid0(VALU_DEP_1)
	v_pk_add_f32 v[20:21], v[20:21], v[32:33]
	s_branch .LBB4_17
.LBB4_44:                               ;   in Loop: Header=BB4_10 Depth=1
	v_mov_b64_e32 v[24:25], 0
	v_mov_b64_e32 v[18:19], 0
	s_cbranch_execnz .LBB4_12
.LBB4_45:                               ;   in Loop: Header=BB4_10 Depth=1
	s_lshl_b64 s[44:45], s[12:13], 3
	s_delay_alu instid0(SALU_CYCLE_1)
	s_add_nc_u64 s[44:45], s[6:7], s[44:45]
	s_wait_loadcnt 0x0
	global_load_b64 v[16:17], v1, s[44:45]
	s_wait_loadcnt 0x0
	v_add_nc_u64_e32 v[18:19], s[8:9], v[16:17]
	s_and_not1_b32 vcc_lo, exec_lo, s33
	s_cbranch_vccz .LBB4_13
	s_branch .LBB4_14
.LBB4_46:                               ;   in Loop: Header=BB4_10 Depth=1
	s_or_b32 exec_lo, exec_lo, s44
.LBB4_47:                               ;   in Loop: Header=BB4_10 Depth=1
	s_delay_alu instid0(SALU_CYCLE_1)
	s_or_b32 exec_lo, exec_lo, s43
	ds_store_b64 v36, v[20:21]
	s_wait_loadcnt_dscnt 0x0
	s_barrier_signal -1
	s_barrier_wait -1
.LBB4_48:                               ;   in Loop: Header=BB4_10 Depth=1
	s_wait_xcnt 0x0
	s_and_saveexec_b32 s5, s1
	s_cbranch_execz .LBB4_9
; %bb.49:                               ;   in Loop: Header=BB4_10 Depth=1
	s_wait_loadcnt 0x0
	v_add_nc_u64_e32 v[16:17], s[16:17], v[16:17]
	s_and_b32 vcc_lo, exec_lo, s40
	s_mov_b32 s43, -1
	s_cbranch_vccz .LBB4_55
; %bb.50:                               ;   in Loop: Header=BB4_10 Depth=1
	s_and_saveexec_b32 s43, s4
	s_cbranch_execz .LBB4_54
; %bb.51:                               ;   in Loop: Header=BB4_10 Depth=1
	v_dual_mov_b32 v18, 0 :: v_dual_mov_b32 v19, 0
	s_and_not1_b32 vcc_lo, exec_lo, s42
	s_cbranch_vccnz .LBB4_53
; %bb.52:                               ;   in Loop: Header=BB4_10 Depth=1
	v_lshl_add_u64 v[18:19], v[8:9], 3, v[16:17]
	v_mov_b64_e32 v[20:21], s[18:19]
	v_mov_b64_e32 v[22:23], s[30:31]
	flat_load_b64 v[18:19], v[18:19]
	s_wait_loadcnt_dscnt 0x0
	v_pk_mul_f32 v[20:21], v[20:21], v[18:19] op_sel:[0,1]
	s_delay_alu instid0(VALU_DEP_1) | instskip(SKIP_2) | instid1(VALU_DEP_2)
	v_pk_fma_f32 v[24:25], v[22:23], v[18:19], v[20:21] op_sel_hi:[1,0,1]
	s_wait_xcnt 0x0
	v_pk_fma_f32 v[18:19], v[22:23], v[18:19], v[20:21] neg_lo:[0,0,1] neg_hi:[0,0,1]
	v_mov_b32_e32 v19, v25
.LBB4_53:                               ;   in Loop: Header=BB4_10 Depth=1
	v_lshl_add_u64 v[20:21], v[8:9], 3, v[16:17]
	flat_store_b64 v[20:21], v[18:19]
.LBB4_54:                               ;   in Loop: Header=BB4_10 Depth=1
	s_wait_xcnt 0x0
	s_or_b32 exec_lo, exec_lo, s43
	s_mov_b32 s43, 0
.LBB4_55:                               ;   in Loop: Header=BB4_10 Depth=1
	s_delay_alu instid0(SALU_CYCLE_1)
	s_and_not1_b32 vcc_lo, exec_lo, s43
	s_cbranch_vccnz .LBB4_9
; %bb.56:                               ;   in Loop: Header=BB4_10 Depth=1
	ds_load_2addr_stride64_b64 v[18:21], v36 offset1:1
	ds_load_2addr_stride64_b64 v[22:25], v36 offset0:2 offset1:3
	ds_load_2addr_stride64_b64 v[26:29], v36 offset0:4 offset1:5
	s_wait_dscnt 0x2
	v_pk_add_f32 v[30:31], v[18:19], v[20:21]
	ds_load_2addr_stride64_b64 v[18:21], v36 offset0:6 offset1:7
	s_wait_dscnt 0x2
	v_pk_add_f32 v[22:23], v[30:31], v[22:23]
	s_delay_alu instid0(VALU_DEP_1) | instskip(SKIP_3) | instid1(VALU_DEP_1)
	v_pk_add_f32 v[30:31], v[22:23], v[24:25]
	ds_load_2addr_stride64_b64 v[22:25], v36 offset0:8 offset1:9
	s_wait_dscnt 0x2
	v_pk_add_f32 v[26:27], v[30:31], v[26:27]
	v_pk_add_f32 v[30:31], v[26:27], v[28:29]
	ds_load_2addr_stride64_b64 v[26:29], v36 offset0:10 offset1:11
	s_wait_dscnt 0x2
	v_pk_add_f32 v[18:19], v[30:31], v[18:19]
	s_delay_alu instid0(VALU_DEP_1) | instskip(SKIP_1) | instid1(VALU_DEP_1)
	v_pk_add_f32 v[18:19], v[18:19], v[20:21]
	s_wait_dscnt 0x1
	v_pk_add_f32 v[22:23], v[18:19], v[22:23]
	ds_load_2addr_stride64_b64 v[18:21], v36 offset0:12 offset1:13
	v_pk_add_f32 v[22:23], v[22:23], v[24:25]
	s_wait_dscnt 0x1
	s_delay_alu instid0(VALU_DEP_1) | instskip(SKIP_3) | instid1(VALU_DEP_1)
	v_pk_add_f32 v[26:27], v[22:23], v[26:27]
	ds_load_2addr_stride64_b64 v[22:25], v36 offset0:14 offset1:15
	v_pk_add_f32 v[26:27], v[26:27], v[28:29]
	s_wait_dscnt 0x1
	v_pk_add_f32 v[18:19], v[26:27], v[18:19]
	s_delay_alu instid0(VALU_DEP_1) | instskip(SKIP_1) | instid1(VALU_DEP_1)
	v_pk_add_f32 v[18:19], v[18:19], v[20:21]
	s_wait_dscnt 0x0
	v_pk_add_f32 v[18:19], v[18:19], v[22:23]
	s_delay_alu instid0(VALU_DEP_1)
	v_pk_add_f32 v[20:21], v[18:19], v[24:25]
	ds_store_b64 v36, v[20:21]
	s_and_b32 exec_lo, exec_lo, s4
	s_cbranch_execz .LBB4_9
; %bb.57:                               ;   in Loop: Header=BB4_10 Depth=1
	v_mov_b64_e32 v[18:19], s[34:35]
	v_mov_b64_e32 v[22:23], s[28:29]
	v_lshl_add_u64 v[16:17], v[8:9], 3, v[16:17]
	s_and_not1_b32 vcc_lo, exec_lo, s42
	s_delay_alu instid0(VALU_DEP_3) | instskip(NEXT) | instid1(VALU_DEP_1)
	v_pk_mul_f32 v[24:25], v[20:21], v[18:19] op_sel:[1,0]
	v_pk_fma_f32 v[18:19], v[20:21], v[22:23], v[24:25] op_sel_hi:[0,1,1] neg_lo:[0,0,1] neg_hi:[0,0,1]
	v_pk_fma_f32 v[20:21], v[20:21], v[22:23], v[24:25] op_sel_hi:[0,1,1]
	s_cbranch_vccnz .LBB4_8
; %bb.58:                               ;   in Loop: Header=BB4_10 Depth=1
	flat_load_b64 v[22:23], v[16:17]
	v_mov_b64_e32 v[24:25], s[18:19]
	v_mov_b64_e32 v[26:27], s[30:31]
	s_wait_loadcnt_dscnt 0x0
	s_delay_alu instid0(VALU_DEP_2) | instskip(NEXT) | instid1(VALU_DEP_1)
	v_pk_mul_f32 v[24:25], v[24:25], v[22:23] op_sel:[0,1]
	v_pk_fma_f32 v[28:29], v[26:27], v[22:23], v[24:25] op_sel_hi:[1,0,1]
	v_mov_b32_e32 v19, v21
	v_pk_fma_f32 v[20:21], v[26:27], v[22:23], v[24:25] neg_lo:[0,0,1] neg_hi:[0,0,1]
	s_delay_alu instid0(VALU_DEP_3) | instskip(NEXT) | instid1(VALU_DEP_1)
	v_mov_b32_e32 v21, v29
	v_pk_add_f32 v[18:19], v[18:19], v[20:21]
	s_delay_alu instid0(VALU_DEP_1)
	v_mov_b32_e32 v21, v19
	s_branch .LBB4_8
.LBB4_59:
	s_endpgm
	.section	.rodata,"a",@progbits
	.p2align	6, 0x0
	.amdhsa_kernel _ZL20rocblas_hbmvn_kernelILi64ELi16EPK19rocblas_complex_numIfEPKS3_PKPS1_EvbiiT1_T2_lllSA_lllS9_T3_llli
		.amdhsa_group_segment_fixed_size 8192
		.amdhsa_private_segment_fixed_size 0
		.amdhsa_kernarg_size 392
		.amdhsa_user_sgpr_count 2
		.amdhsa_user_sgpr_dispatch_ptr 0
		.amdhsa_user_sgpr_queue_ptr 0
		.amdhsa_user_sgpr_kernarg_segment_ptr 1
		.amdhsa_user_sgpr_dispatch_id 0
		.amdhsa_user_sgpr_kernarg_preload_length 0
		.amdhsa_user_sgpr_kernarg_preload_offset 0
		.amdhsa_user_sgpr_private_segment_size 0
		.amdhsa_wavefront_size32 1
		.amdhsa_uses_dynamic_stack 0
		.amdhsa_enable_private_segment 0
		.amdhsa_system_sgpr_workgroup_id_x 1
		.amdhsa_system_sgpr_workgroup_id_y 0
		.amdhsa_system_sgpr_workgroup_id_z 1
		.amdhsa_system_sgpr_workgroup_info 0
		.amdhsa_system_vgpr_workitem_id 1
		.amdhsa_next_free_vgpr 44
		.amdhsa_next_free_sgpr 50
		.amdhsa_named_barrier_count 0
		.amdhsa_reserve_vcc 1
		.amdhsa_float_round_mode_32 0
		.amdhsa_float_round_mode_16_64 0
		.amdhsa_float_denorm_mode_32 3
		.amdhsa_float_denorm_mode_16_64 3
		.amdhsa_fp16_overflow 0
		.amdhsa_memory_ordered 1
		.amdhsa_forward_progress 1
		.amdhsa_inst_pref_size 19
		.amdhsa_round_robin_scheduling 0
		.amdhsa_exception_fp_ieee_invalid_op 0
		.amdhsa_exception_fp_denorm_src 0
		.amdhsa_exception_fp_ieee_div_zero 0
		.amdhsa_exception_fp_ieee_overflow 0
		.amdhsa_exception_fp_ieee_underflow 0
		.amdhsa_exception_fp_ieee_inexact 0
		.amdhsa_exception_int_div_zero 0
	.end_amdhsa_kernel
	.section	.text._ZL20rocblas_hbmvn_kernelILi64ELi16EPK19rocblas_complex_numIfEPKS3_PKPS1_EvbiiT1_T2_lllSA_lllS9_T3_llli,"axG",@progbits,_ZL20rocblas_hbmvn_kernelILi64ELi16EPK19rocblas_complex_numIfEPKS3_PKPS1_EvbiiT1_T2_lllSA_lllS9_T3_llli,comdat
.Lfunc_end4:
	.size	_ZL20rocblas_hbmvn_kernelILi64ELi16EPK19rocblas_complex_numIfEPKS3_PKPS1_EvbiiT1_T2_lllSA_lllS9_T3_llli, .Lfunc_end4-_ZL20rocblas_hbmvn_kernelILi64ELi16EPK19rocblas_complex_numIfEPKS3_PKPS1_EvbiiT1_T2_lllSA_lllS9_T3_llli
                                        ; -- End function
	.set _ZL20rocblas_hbmvn_kernelILi64ELi16EPK19rocblas_complex_numIfEPKS3_PKPS1_EvbiiT1_T2_lllSA_lllS9_T3_llli.num_vgpr, 44
	.set _ZL20rocblas_hbmvn_kernelILi64ELi16EPK19rocblas_complex_numIfEPKS3_PKPS1_EvbiiT1_T2_lllSA_lllS9_T3_llli.num_agpr, 0
	.set _ZL20rocblas_hbmvn_kernelILi64ELi16EPK19rocblas_complex_numIfEPKS3_PKPS1_EvbiiT1_T2_lllSA_lllS9_T3_llli.numbered_sgpr, 50
	.set _ZL20rocblas_hbmvn_kernelILi64ELi16EPK19rocblas_complex_numIfEPKS3_PKPS1_EvbiiT1_T2_lllSA_lllS9_T3_llli.num_named_barrier, 0
	.set _ZL20rocblas_hbmvn_kernelILi64ELi16EPK19rocblas_complex_numIfEPKS3_PKPS1_EvbiiT1_T2_lllSA_lllS9_T3_llli.private_seg_size, 0
	.set _ZL20rocblas_hbmvn_kernelILi64ELi16EPK19rocblas_complex_numIfEPKS3_PKPS1_EvbiiT1_T2_lllSA_lllS9_T3_llli.uses_vcc, 1
	.set _ZL20rocblas_hbmvn_kernelILi64ELi16EPK19rocblas_complex_numIfEPKS3_PKPS1_EvbiiT1_T2_lllSA_lllS9_T3_llli.uses_flat_scratch, 0
	.set _ZL20rocblas_hbmvn_kernelILi64ELi16EPK19rocblas_complex_numIfEPKS3_PKPS1_EvbiiT1_T2_lllSA_lllS9_T3_llli.has_dyn_sized_stack, 0
	.set _ZL20rocblas_hbmvn_kernelILi64ELi16EPK19rocblas_complex_numIfEPKS3_PKPS1_EvbiiT1_T2_lllSA_lllS9_T3_llli.has_recursion, 0
	.set _ZL20rocblas_hbmvn_kernelILi64ELi16EPK19rocblas_complex_numIfEPKS3_PKPS1_EvbiiT1_T2_lllSA_lllS9_T3_llli.has_indirect_call, 0
	.section	.AMDGPU.csdata,"",@progbits
; Kernel info:
; codeLenInByte = 2360
; TotalNumSgprs: 52
; NumVgprs: 44
; ScratchSize: 0
; MemoryBound: 0
; FloatMode: 240
; IeeeMode: 1
; LDSByteSize: 8192 bytes/workgroup (compile time only)
; SGPRBlocks: 0
; VGPRBlocks: 2
; NumSGPRsForWavesPerEU: 52
; NumVGPRsForWavesPerEU: 44
; NamedBarCnt: 0
; Occupancy: 16
; WaveLimiterHint : 1
; COMPUTE_PGM_RSRC2:SCRATCH_EN: 0
; COMPUTE_PGM_RSRC2:USER_SGPR: 2
; COMPUTE_PGM_RSRC2:TRAP_HANDLER: 0
; COMPUTE_PGM_RSRC2:TGID_X_EN: 1
; COMPUTE_PGM_RSRC2:TGID_Y_EN: 0
; COMPUTE_PGM_RSRC2:TGID_Z_EN: 1
; COMPUTE_PGM_RSRC2:TIDIG_COMP_CNT: 1
	.section	.text._ZL20rocblas_hbmvn_kernelILi64ELi16E19rocblas_complex_numIfEPKPKS1_PKPS1_EvbiiT1_T2_lllSA_lllS9_T3_llli,"axG",@progbits,_ZL20rocblas_hbmvn_kernelILi64ELi16E19rocblas_complex_numIfEPKPKS1_PKPS1_EvbiiT1_T2_lllSA_lllS9_T3_llli,comdat
	.globl	_ZL20rocblas_hbmvn_kernelILi64ELi16E19rocblas_complex_numIfEPKPKS1_PKPS1_EvbiiT1_T2_lllSA_lllS9_T3_llli ; -- Begin function _ZL20rocblas_hbmvn_kernelILi64ELi16E19rocblas_complex_numIfEPKPKS1_PKPS1_EvbiiT1_T2_lllSA_lllS9_T3_llli
	.p2align	8
	.type	_ZL20rocblas_hbmvn_kernelILi64ELi16E19rocblas_complex_numIfEPKPKS1_PKPS1_EvbiiT1_T2_lllSA_lllS9_T3_llli,@function
_ZL20rocblas_hbmvn_kernelILi64ELi16E19rocblas_complex_numIfEPKPKS1_PKPS1_EvbiiT1_T2_lllSA_lllS9_T3_llli: ; @_ZL20rocblas_hbmvn_kernelILi64ELi16E19rocblas_complex_numIfEPKPKS1_PKPS1_EvbiiT1_T2_lllSA_lllS9_T3_llli
; %bb.0:
	s_load_b64 s[2:3], s[0:1], 0x94
	s_wait_kmcnt 0x0
	s_lshr_b32 s5, s2, 16
	s_and_b32 s4, s2, 0xffff
	s_and_b32 s2, s3, 0xffff
	s_mul_i32 s3, s5, s4
	s_delay_alu instid0(SALU_CYCLE_1) | instskip(NEXT) | instid1(SALU_CYCLE_1)
	s_mul_i32 s3, s3, s2
	s_cmp_lg_u32 s3, 0x400
	s_cbranch_scc1 .LBB5_59
; %bb.1:
	s_clause 0x1
	s_load_b128 s[8:11], s[0:1], 0x0
	s_load_b32 s7, s[0:1], 0x10
	s_bfe_u32 s2, ttmp6, 0x40014
	s_lshr_b32 s5, ttmp7, 16
	s_add_co_i32 s2, s2, 1
	s_clause 0x1
	s_load_b32 s33, s[0:1], 0x80
	s_load_b64 s[24:25], s[0:1], 0x58
	s_bfe_u32 s6, ttmp6, 0x40008
	s_mul_i32 s2, s5, s2
	s_getreg_b32 s3, hwreg(HW_REG_IB_STS2, 6, 4)
	s_add_co_i32 s6, s6, s2
	s_cmp_eq_u32 s3, 0
	s_cselect_b32 s26, s5, s6
	s_wait_kmcnt 0x0
	s_cmp_neq_f32 s11, 0
	s_cselect_b32 s2, -1, 0
	s_cmp_neq_f32 s7, 0
	s_cselect_b32 s5, -1, 0
	s_delay_alu instid0(SALU_CYCLE_1) | instskip(NEXT) | instid1(SALU_CYCLE_1)
	s_or_b32 s2, s2, s5
	s_and_b32 vcc_lo, exec_lo, s2
	s_mov_b32 s2, 0
	s_cbranch_vccnz .LBB5_3
; %bb.2:
	s_cmp_neq_f32 s24, 1.0
	s_cselect_b32 s2, -1, 0
	s_cmp_neq_f32 s25, 0
	s_cselect_b32 s5, -1, 0
	s_delay_alu instid0(SALU_CYCLE_1) | instskip(SKIP_2) | instid1(SALU_CYCLE_1)
	s_or_b32 s2, s2, s5
	s_cmp_lt_u32 s26, s33
	s_cselect_b32 s6, -1, 0
	s_and_b32 s2, s2, s6
	s_cbranch_execz .LBB5_4
	s_branch .LBB5_6
.LBB5_3:
.LBB5_4:
	s_cmp_lt_u32 s26, s33
	s_cbranch_scc0 .LBB5_6
; %bb.5:
	s_mov_b32 s2, -1
.LBB5_6:
	s_delay_alu instid0(SALU_CYCLE_1)
	s_and_b32 vcc_lo, exec_lo, s2
	s_cbranch_vccz .LBB5_59
; %bb.7:
	s_bitcmp1_b32 s8, 0
	v_and_b32_e32 v1, 0x3ff, v0
	s_cselect_b32 s2, -1, 0
	v_bfe_u32 v0, v0, 10, 10
	s_and_b32 s5, s2, exec_lo
	s_cselect_b32 s30, s10, 0
	s_or_b32 s5, s11, s7
	s_xor_b32 s8, s2, -1
	s_bitset0_b32 s5, 31
	v_mad_u32_u24 v0, v0, s4, v1
	s_cmp_lg_u32 s5, 0
	s_clause 0x1
	s_load_b128 s[12:15], s[0:1], 0x18
	s_load_b64 s[36:37], s[0:1], 0x28
	s_cselect_b32 s40, -1, 0
	s_cmp_eq_u32 s5, 0
	s_clause 0x1
	s_load_b64 s[34:35], s[0:1], 0x48
	s_load_b128 s[16:19], s[0:1], 0x38
	s_cselect_b32 s41, -1, 0
	s_bfe_u32 s4, ttmp6, 0x4000c
	s_and_b32 s5, ttmp6, 15
	s_add_co_i32 s4, s4, 1
	v_dual_mov_b32 v1, 0 :: v_dual_lshrrev_b32 v2, 6, v0
	s_mul_i32 s4, ttmp9, s4
	v_and_b32_e32 v18, 63, v0
	s_add_co_i32 s5, s5, s4
	s_cmp_eq_u32 s3, 0
	v_mov_b32_e32 v3, v1
	s_cselect_b32 s3, ttmp9, s5
	s_clause 0x1
	s_load_b64 s[4:5], s[0:1], 0x70
	s_load_b128 s[20:23], s[0:1], 0x60
	s_lshl_b32 s44, s3, 6
	s_wait_kmcnt 0x0
	v_mul_u64_e32 v[14:15], s[36:37], v[2:3]
	v_dual_add_nc_u32 v10, s44, v0 :: v_dual_bitop2_b32 v4, s44, v18 bitop3:0x54
	v_mul_u64_e32 v[12:13], s[34:35], v[2:3]
	s_cmp_eq_u32 s10, 0
	v_lshlrev_b32_e32 v3, 3, v0
	s_delay_alu instid0(VALU_DEP_3)
	v_dual_ashrrev_i32 v5, 31, v4 :: v_dual_ashrrev_i32 v11, 31, v10
	s_cselect_b32 s3, -1, 0
	v_cmp_gt_i32_e64 s0, s9, v2
	s_or_b32 s42, s8, s3
	s_cmp_neq_f32 s24, 0
	v_mul_u64_e32 v[6:7], s[36:37], v[4:5]
	v_lshlrev_b64_e32 v[16:17], 3, v[4:5]
	v_cmp_gt_u32_e64 s3, 64, v0
	s_cselect_b32 s31, -1, 0
	s_cmp_neq_f32 s25, 0
	v_mul_u64_e32 v[8:9], s[4:5], v[10:11]
	v_cmp_gt_i32_e64 s4, s9, v10
	v_sub_nc_u32_e32 v0, s30, v18
	s_cselect_b32 s5, -1, 0
	s_lshl_b64 s[28:29], s[36:37], 3
	v_cmp_gt_i32_e64 s1, s9, v4
	s_add_nc_u64 s[38:39], s[28:29], -8
	v_subrev_nc_u32_e32 v5, s44, v0
	v_mad_nc_u64_u32 v[10:11], v2, s38, v[16:17]
	v_add3_u32 v0, s10, s44, v18
	v_sub_nc_u32_e32 v37, v4, v2
	s_lshl_b64 s[36:37], s[36:37], 7
	s_mov_b32 s6, s11
	s_mov_b32 s27, 0
	v_sub_nc_u32_e32 v36, v0, v2
	v_lshlrev_b64_e32 v[14:15], 3, v[14:15]
	s_or_b32 s43, s31, s5
	s_mov_b32 s28, s25
	v_lshlrev_b64_e32 v[12:13], 3, v[12:13]
	v_mad_u32 v11, v2, s39, v11
	s_mov_b64 s[38:39], 0xffffffffffffff80
	s_mov_b32 s29, s24
	s_mov_b32 s30, s7
	;; [unrolled: 1-line block ×3, first 2 shown]
	s_lshl_b64 s[34:35], s[34:35], 7
	s_add_nc_u64 s[38:39], s[36:37], s[38:39]
	s_lshl_b64 s[14:15], s[14:15], 3
	s_lshl_b64 s[18:19], s[18:19], 3
	;; [unrolled: 1-line block ×3, first 2 shown]
	s_branch .LBB5_10
.LBB5_8:                                ;   in Loop: Header=BB5_10 Depth=1
	s_delay_alu instid0(VALU_DEP_1)
	v_mov_b32_e32 v19, v21
	flat_store_b64 v[16:17], v[18:19]
.LBB5_9:                                ;   in Loop: Header=BB5_10 Depth=1
	s_wait_xcnt 0x0
	s_or_b32 exec_lo, exec_lo, s5
	s_add_co_i32 s26, s26, 0x10000
	s_delay_alu instid0(SALU_CYCLE_1)
	s_cmp_lt_u32 s26, s33
	s_cbranch_scc0 .LBB5_59
.LBB5_10:                               ; =>This Loop Header: Depth=1
                                        ;     Child Loop BB5_20 Depth 2
	s_and_not1_b32 vcc_lo, exec_lo, s41
	s_mov_b32 s5, -1
	s_cbranch_vccz .LBB5_44
; %bb.11:                               ;   in Loop: Header=BB5_10 Depth=1
	v_mov_b64_e32 v[24:25], 0
	v_mov_b64_e32 v[18:19], 0
	s_and_not1_b32 vcc_lo, exec_lo, s5
	s_cbranch_vccz .LBB5_45
.LBB5_12:                               ;   in Loop: Header=BB5_10 Depth=1
	s_and_not1_b32 vcc_lo, exec_lo, s40
	s_cbranch_vccnz .LBB5_14
.LBB5_13:                               ;   in Loop: Header=BB5_10 Depth=1
	s_wait_xcnt 0x0
	s_lshl_b64 s[44:45], s[26:27], 3
	s_delay_alu instid0(SALU_CYCLE_1)
	s_add_nc_u64 s[44:45], s[16:17], s[44:45]
	s_wait_loadcnt 0x0
	global_load_b64 v[16:17], v1, s[44:45]
	s_wait_loadcnt 0x0
	v_add_nc_u64_e32 v[24:25], s[18:19], v[16:17]
.LBB5_14:                               ;   in Loop: Header=BB5_10 Depth=1
	s_wait_xcnt 0x0
	s_lshl_b64 s[44:45], s[26:27], 3
	s_and_not1_b32 vcc_lo, exec_lo, s40
	s_add_nc_u64 s[44:45], s[20:21], s[44:45]
	s_wait_loadcnt 0x0
	global_load_b64 v[16:17], v1, s[44:45]
	s_cbranch_vccnz .LBB5_48
; %bb.15:                               ;   in Loop: Header=BB5_10 Depth=1
	v_dual_mov_b32 v21, 0 :: v_dual_mov_b32 v20, 0
	s_wait_xcnt 0x0
	s_and_saveexec_b32 s11, s0
	s_cbranch_execz .LBB5_47
; %bb.16:                               ;   in Loop: Header=BB5_10 Depth=1
	v_add_nc_u64_e32 v[24:25], v[24:25], v[12:13]
	v_mov_b64_e32 v[20:21], 0
	v_mov_b64_e32 v[26:27], v[10:11]
	;; [unrolled: 1-line block ×3, first 2 shown]
	v_lshl_add_u64 v[22:23], v[6:7], 3, v[18:19]
	v_dual_mov_b32 v38, v37 :: v_dual_mov_b32 v28, v36
	v_mov_b32_e32 v39, v2
	s_mov_b32 s44, 0
	s_branch .LBB5_20
.LBB5_17:                               ;   in Loop: Header=BB5_20 Depth=2
	s_wait_xcnt 0x0
	s_or_b32 exec_lo, exec_lo, s5
.LBB5_18:                               ;   in Loop: Header=BB5_20 Depth=2
	s_delay_alu instid0(SALU_CYCLE_1)
	s_or_b32 exec_lo, exec_lo, s46
.LBB5_19:                               ;   in Loop: Header=BB5_20 Depth=2
	s_delay_alu instid0(SALU_CYCLE_1) | instskip(SKIP_4) | instid1(VALU_DEP_4)
	s_or_b32 exec_lo, exec_lo, s45
	v_dual_add_nc_u32 v39, 16, v39 :: v_dual_add_nc_u32 v28, -16, v28
	v_add_nc_u64_e32 v[24:25], s[34:35], v[24:25]
	v_add_nc_u64_e32 v[30:31], s[36:37], v[30:31]
	;; [unrolled: 1-line block ×3, first 2 shown]
	v_cmp_le_i32_e32 vcc_lo, s9, v39
	v_add_nc_u32_e32 v38, -16, v38
	s_or_b32 s44, vcc_lo, s44
	s_delay_alu instid0(SALU_CYCLE_1)
	s_and_not1_b32 exec_lo, exec_lo, s44
	s_cbranch_execz .LBB5_46
.LBB5_20:                               ;   Parent Loop BB5_10 Depth=1
                                        ; =>  This Inner Loop Header: Depth=2
	s_and_saveexec_b32 s45, s1
	s_cbranch_execz .LBB5_19
; %bb.21:                               ;   in Loop: Header=BB5_20 Depth=2
	v_cmp_gt_i32_e32 vcc_lo, v4, v39
	v_cndmask_b32_e64 v0, 0, 1, vcc_lo
	v_cmp_lt_i32_e32 vcc_lo, v4, v39
	v_cndmask_b32_e64 v29, 0, 1, vcc_lo
	s_delay_alu instid0(VALU_DEP_1) | instskip(NEXT) | instid1(VALU_DEP_1)
	v_cndmask_b32_e64 v0, v29, v0, s2
	v_and_b32_e32 v0, 1, v0
	s_delay_alu instid0(VALU_DEP_1) | instskip(SKIP_1) | instid1(SALU_CYCLE_1)
	v_cmp_eq_u32_e32 vcc_lo, 1, v0
	s_xor_b32 s5, vcc_lo, -1
	s_and_saveexec_b32 s46, s5
	s_delay_alu instid0(SALU_CYCLE_1)
	s_xor_b32 s46, exec_lo, s46
	s_cbranch_execz .LBB5_41
; %bb.22:                               ;   in Loop: Header=BB5_20 Depth=2
	v_add_nc_u32_e32 v0, s10, v38
	s_delay_alu instid0(VALU_DEP_1) | instskip(NEXT) | instid1(VALU_DEP_1)
	v_cndmask_b32_e64 v0, v38, v0, s2
	v_cmp_le_i32_e32 vcc_lo, s10, v0
	v_cmp_gt_i32_e64 s5, 1, v0
	s_or_b32 s5, vcc_lo, s5
	s_delay_alu instid0(SALU_CYCLE_1) | instskip(NEXT) | instid1(SALU_CYCLE_1)
	s_and_saveexec_b32 s47, s5
	s_xor_b32 s5, exec_lo, s47
	s_cbranch_execz .LBB5_38
; %bb.23:                               ;   in Loop: Header=BB5_20 Depth=2
	s_mov_b32 s47, exec_lo
	v_cmpx_ne_u32_e32 0, v0
	s_xor_b32 s47, exec_lo, s47
	s_cbranch_execz .LBB5_31
; %bb.24:                               ;   in Loop: Header=BB5_20 Depth=2
	s_mov_b32 s48, exec_lo
	v_cmpx_eq_u32_e64 s10, v0
	s_cbranch_execz .LBB5_30
; %bb.25:                               ;   in Loop: Header=BB5_20 Depth=2
	s_and_b32 vcc_lo, exec_lo, s8
	s_mov_b32 s49, -1
                                        ; implicit-def: $vgpr32_vgpr33
	s_cbranch_vccz .LBB5_27
; %bb.26:                               ;   in Loop: Header=BB5_20 Depth=2
	v_add_nc_u64_e32 v[32:33], v[18:19], v[26:27]
	s_mov_b32 s49, 0
	flat_load_b64 v[34:35], v[32:33]
	flat_load_b64 v[40:41], v[24:25]
	s_wait_loadcnt_dscnt 0x0
	s_wait_xcnt 0x1
	v_pk_mul_f32 v[32:33], v[40:41], v[34:35] op_sel:[1,1] op_sel_hi:[0,1]
	s_delay_alu instid0(VALU_DEP_1) | instskip(SKIP_1) | instid1(VALU_DEP_2)
	v_pk_fma_f32 v[42:43], v[40:41], v[34:35], v[32:33] op_sel_hi:[1,0,1]
	v_pk_fma_f32 v[32:33], v[40:41], v[34:35], v[32:33] neg_lo:[0,0,1] neg_hi:[0,0,1]
	v_mov_b32_e32 v33, v43
	s_delay_alu instid0(VALU_DEP_1)
	v_pk_add_f32 v[32:33], v[20:21], v[32:33]
.LBB5_27:                               ;   in Loop: Header=BB5_20 Depth=2
	s_and_not1_b32 vcc_lo, exec_lo, s49
	s_cbranch_vccnz .LBB5_29
; %bb.28:                               ;   in Loop: Header=BB5_20 Depth=2
	v_ashrrev_i32_e32 v29, 31, v28
	s_delay_alu instid0(VALU_DEP_1) | instskip(NEXT) | instid1(VALU_DEP_1)
	v_lshl_add_u64 v[32:33], v[28:29], 3, v[30:31]
	v_add_nc_u64_e32 v[32:33], v[18:19], v[32:33]
	flat_load_b32 v0, v[32:33]
	flat_load_b64 v[34:35], v[24:25]
	s_wait_loadcnt_dscnt 0x0
	s_wait_xcnt 0x1
	v_pk_fma_f32 v[32:33], v[0:1], v[34:35], v[20:21] op_sel_hi:[0,1,1]
.LBB5_29:                               ;   in Loop: Header=BB5_20 Depth=2
	s_delay_alu instid0(VALU_DEP_1)
	v_mov_b64_e32 v[20:21], v[32:33]
.LBB5_30:                               ;   in Loop: Header=BB5_20 Depth=2
	s_wait_xcnt 0x0
	s_or_b32 exec_lo, exec_lo, s48
.LBB5_31:                               ;   in Loop: Header=BB5_20 Depth=2
	s_and_not1_saveexec_b32 s47, s47
	s_cbranch_execz .LBB5_37
; %bb.32:                               ;   in Loop: Header=BB5_20 Depth=2
	v_add_nc_u64_e32 v[32:33], v[18:19], v[30:31]
	s_and_not1_b32 vcc_lo, exec_lo, s42
	s_mov_b32 s48, -1
                                        ; implicit-def: $vgpr34_vgpr35
	s_cbranch_vccnz .LBB5_34
; %bb.33:                               ;   in Loop: Header=BB5_20 Depth=2
	flat_load_b32 v0, v[32:33]
	flat_load_b64 v[34:35], v[24:25]
	s_mov_b32 s48, 0
	s_wait_loadcnt_dscnt 0x0
	v_pk_fma_f32 v[34:35], v[0:1], v[34:35], v[20:21] op_sel_hi:[0,1,1]
.LBB5_34:                               ;   in Loop: Header=BB5_20 Depth=2
	s_and_not1_b32 vcc_lo, exec_lo, s48
	s_cbranch_vccnz .LBB5_36
; %bb.35:                               ;   in Loop: Header=BB5_20 Depth=2
	flat_load_b64 v[34:35], v[32:33]
	flat_load_b64 v[40:41], v[24:25]
	s_wait_loadcnt_dscnt 0x0
	s_wait_xcnt 0x1
	v_pk_mul_f32 v[32:33], v[40:41], v[34:35] op_sel:[1,1] op_sel_hi:[0,1]
	s_delay_alu instid0(VALU_DEP_1) | instskip(SKIP_1) | instid1(VALU_DEP_2)
	v_pk_fma_f32 v[42:43], v[40:41], v[34:35], v[32:33] op_sel_hi:[1,0,1]
	v_pk_fma_f32 v[32:33], v[40:41], v[34:35], v[32:33] neg_lo:[0,0,1] neg_hi:[0,0,1]
	v_mov_b32_e32 v33, v43
	s_delay_alu instid0(VALU_DEP_1)
	v_pk_add_f32 v[34:35], v[20:21], v[32:33]
.LBB5_36:                               ;   in Loop: Header=BB5_20 Depth=2
	s_delay_alu instid0(VALU_DEP_1)
	v_mov_b64_e32 v[20:21], v[34:35]
.LBB5_37:                               ;   in Loop: Header=BB5_20 Depth=2
	s_wait_xcnt 0x0
	s_or_b32 exec_lo, exec_lo, s47
.LBB5_38:                               ;   in Loop: Header=BB5_20 Depth=2
	s_and_not1_saveexec_b32 s5, s5
	s_cbranch_execz .LBB5_40
; %bb.39:                               ;   in Loop: Header=BB5_20 Depth=2
	v_lshl_add_u64 v[32:33], v[0:1], 3, v[30:31]
	s_delay_alu instid0(VALU_DEP_1)
	v_add_nc_u64_e32 v[32:33], v[18:19], v[32:33]
	flat_load_b64 v[34:35], v[32:33]
	flat_load_b64 v[40:41], v[24:25]
	s_wait_loadcnt_dscnt 0x0
	s_wait_xcnt 0x1
	v_pk_mul_f32 v[32:33], v[40:41], v[34:35] op_sel:[1,1] op_sel_hi:[0,1]
	s_delay_alu instid0(VALU_DEP_1) | instskip(SKIP_1) | instid1(VALU_DEP_2)
	v_pk_fma_f32 v[42:43], v[40:41], v[34:35], v[32:33] op_sel_hi:[1,0,1]
	v_pk_fma_f32 v[32:33], v[40:41], v[34:35], v[32:33] neg_lo:[0,0,1] neg_hi:[0,0,1]
	v_mov_b32_e32 v33, v43
	s_delay_alu instid0(VALU_DEP_1)
	v_pk_add_f32 v[20:21], v[20:21], v[32:33]
.LBB5_40:                               ;   in Loop: Header=BB5_20 Depth=2
	s_wait_xcnt 0x0
	s_or_b32 exec_lo, exec_lo, s5
.LBB5_41:                               ;   in Loop: Header=BB5_20 Depth=2
	s_and_not1_saveexec_b32 s46, s46
	s_cbranch_execz .LBB5_18
; %bb.42:                               ;   in Loop: Header=BB5_20 Depth=2
	v_add_nc_u32_e32 v0, v5, v39
	s_delay_alu instid0(VALU_DEP_1) | instskip(SKIP_2) | instid1(SALU_CYCLE_1)
	v_cmp_ge_i32_e32 vcc_lo, s10, v0
	v_cmp_lt_i32_e64 s5, -1, v0
	s_and_b32 s47, vcc_lo, s5
	s_and_saveexec_b32 s5, s47
	s_cbranch_execz .LBB5_17
; %bb.43:                               ;   in Loop: Header=BB5_20 Depth=2
	v_lshl_add_u64 v[32:33], v[0:1], 3, v[22:23]
	flat_load_b64 v[34:35], v[32:33]
	flat_load_b64 v[40:41], v[24:25]
	s_wait_loadcnt_dscnt 0x0
	s_wait_xcnt 0x1
	v_pk_mul_f32 v[32:33], v[34:35], v[40:41] op_sel:[1,1] op_sel_hi:[1,0]
	s_delay_alu instid0(VALU_DEP_1) | instskip(SKIP_1) | instid1(VALU_DEP_2)
	v_pk_fma_f32 v[42:43], v[34:35], v[40:41], v[32:33] op_sel_hi:[0,1,1] neg_lo:[0,0,1] neg_hi:[0,0,1]
	v_pk_fma_f32 v[32:33], v[34:35], v[40:41], v[32:33]
	v_mov_b32_e32 v33, v43
	s_delay_alu instid0(VALU_DEP_1)
	v_pk_add_f32 v[20:21], v[20:21], v[32:33]
	s_branch .LBB5_17
.LBB5_44:                               ;   in Loop: Header=BB5_10 Depth=1
	v_mov_b64_e32 v[24:25], 0
	v_mov_b64_e32 v[18:19], 0
	s_cbranch_execnz .LBB5_12
.LBB5_45:                               ;   in Loop: Header=BB5_10 Depth=1
	s_lshl_b64 s[44:45], s[26:27], 3
	s_delay_alu instid0(SALU_CYCLE_1)
	s_add_nc_u64 s[44:45], s[12:13], s[44:45]
	s_wait_loadcnt 0x0
	global_load_b64 v[16:17], v1, s[44:45]
	s_wait_loadcnt 0x0
	v_add_nc_u64_e32 v[18:19], s[14:15], v[16:17]
	s_and_not1_b32 vcc_lo, exec_lo, s40
	s_cbranch_vccz .LBB5_13
	s_branch .LBB5_14
.LBB5_46:                               ;   in Loop: Header=BB5_10 Depth=1
	s_or_b32 exec_lo, exec_lo, s44
.LBB5_47:                               ;   in Loop: Header=BB5_10 Depth=1
	s_delay_alu instid0(SALU_CYCLE_1)
	s_or_b32 exec_lo, exec_lo, s11
	ds_store_b64 v3, v[20:21]
	s_wait_loadcnt_dscnt 0x0
	s_barrier_signal -1
	s_barrier_wait -1
.LBB5_48:                               ;   in Loop: Header=BB5_10 Depth=1
	s_wait_xcnt 0x0
	s_and_saveexec_b32 s5, s3
	s_cbranch_execz .LBB5_9
; %bb.49:                               ;   in Loop: Header=BB5_10 Depth=1
	s_wait_loadcnt 0x0
	v_add_nc_u64_e32 v[16:17], s[22:23], v[16:17]
	s_and_b32 vcc_lo, exec_lo, s41
	s_mov_b32 s11, -1
	s_cbranch_vccz .LBB5_55
; %bb.50:                               ;   in Loop: Header=BB5_10 Depth=1
	s_and_saveexec_b32 s11, s4
	s_cbranch_execz .LBB5_54
; %bb.51:                               ;   in Loop: Header=BB5_10 Depth=1
	v_dual_mov_b32 v18, 0 :: v_dual_mov_b32 v19, 0
	s_and_not1_b32 vcc_lo, exec_lo, s43
	s_cbranch_vccnz .LBB5_53
; %bb.52:                               ;   in Loop: Header=BB5_10 Depth=1
	v_lshl_add_u64 v[18:19], v[8:9], 3, v[16:17]
	v_mov_b64_e32 v[20:21], s[28:29]
	v_mov_b64_e32 v[22:23], s[24:25]
	flat_load_b64 v[18:19], v[18:19]
	s_wait_loadcnt_dscnt 0x0
	v_pk_mul_f32 v[20:21], v[20:21], v[18:19] op_sel:[0,1]
	s_delay_alu instid0(VALU_DEP_1) | instskip(SKIP_2) | instid1(VALU_DEP_2)
	v_pk_fma_f32 v[24:25], v[22:23], v[18:19], v[20:21] op_sel_hi:[1,0,1]
	s_wait_xcnt 0x0
	v_pk_fma_f32 v[18:19], v[22:23], v[18:19], v[20:21] neg_lo:[0,0,1] neg_hi:[0,0,1]
	v_mov_b32_e32 v19, v25
.LBB5_53:                               ;   in Loop: Header=BB5_10 Depth=1
	v_lshl_add_u64 v[20:21], v[8:9], 3, v[16:17]
	flat_store_b64 v[20:21], v[18:19]
.LBB5_54:                               ;   in Loop: Header=BB5_10 Depth=1
	s_wait_xcnt 0x0
	s_or_b32 exec_lo, exec_lo, s11
	s_mov_b32 s11, 0
.LBB5_55:                               ;   in Loop: Header=BB5_10 Depth=1
	s_delay_alu instid0(SALU_CYCLE_1)
	s_and_not1_b32 vcc_lo, exec_lo, s11
	s_cbranch_vccnz .LBB5_9
; %bb.56:                               ;   in Loop: Header=BB5_10 Depth=1
	ds_load_2addr_stride64_b64 v[18:21], v3 offset1:1
	ds_load_2addr_stride64_b64 v[22:25], v3 offset0:2 offset1:3
	ds_load_2addr_stride64_b64 v[26:29], v3 offset0:4 offset1:5
	s_wait_dscnt 0x2
	v_pk_add_f32 v[30:31], v[18:19], v[20:21]
	ds_load_2addr_stride64_b64 v[18:21], v3 offset0:6 offset1:7
	s_wait_dscnt 0x2
	v_pk_add_f32 v[22:23], v[30:31], v[22:23]
	s_delay_alu instid0(VALU_DEP_1) | instskip(SKIP_3) | instid1(VALU_DEP_1)
	v_pk_add_f32 v[30:31], v[22:23], v[24:25]
	ds_load_2addr_stride64_b64 v[22:25], v3 offset0:8 offset1:9
	s_wait_dscnt 0x2
	v_pk_add_f32 v[26:27], v[30:31], v[26:27]
	v_pk_add_f32 v[30:31], v[26:27], v[28:29]
	ds_load_2addr_stride64_b64 v[26:29], v3 offset0:10 offset1:11
	s_wait_dscnt 0x2
	v_pk_add_f32 v[18:19], v[30:31], v[18:19]
	s_delay_alu instid0(VALU_DEP_1) | instskip(SKIP_1) | instid1(VALU_DEP_1)
	v_pk_add_f32 v[18:19], v[18:19], v[20:21]
	s_wait_dscnt 0x1
	v_pk_add_f32 v[22:23], v[18:19], v[22:23]
	ds_load_2addr_stride64_b64 v[18:21], v3 offset0:12 offset1:13
	v_pk_add_f32 v[22:23], v[22:23], v[24:25]
	s_wait_dscnt 0x1
	s_delay_alu instid0(VALU_DEP_1) | instskip(SKIP_3) | instid1(VALU_DEP_1)
	v_pk_add_f32 v[26:27], v[22:23], v[26:27]
	ds_load_2addr_stride64_b64 v[22:25], v3 offset0:14 offset1:15
	v_pk_add_f32 v[26:27], v[26:27], v[28:29]
	s_wait_dscnt 0x1
	v_pk_add_f32 v[18:19], v[26:27], v[18:19]
	s_delay_alu instid0(VALU_DEP_1) | instskip(SKIP_1) | instid1(VALU_DEP_1)
	v_pk_add_f32 v[18:19], v[18:19], v[20:21]
	s_wait_dscnt 0x0
	v_pk_add_f32 v[18:19], v[18:19], v[22:23]
	s_delay_alu instid0(VALU_DEP_1)
	v_pk_add_f32 v[20:21], v[18:19], v[24:25]
	ds_store_b64 v3, v[20:21]
	s_and_b32 exec_lo, exec_lo, s4
	s_cbranch_execz .LBB5_9
; %bb.57:                               ;   in Loop: Header=BB5_10 Depth=1
	v_mov_b64_e32 v[18:19], s[30:31]
	v_mov_b64_e32 v[22:23], s[6:7]
	v_lshl_add_u64 v[16:17], v[8:9], 3, v[16:17]
	s_and_not1_b32 vcc_lo, exec_lo, s43
	s_delay_alu instid0(VALU_DEP_3) | instskip(NEXT) | instid1(VALU_DEP_1)
	v_pk_mul_f32 v[24:25], v[20:21], v[18:19] op_sel:[1,0]
	v_pk_fma_f32 v[18:19], v[20:21], v[22:23], v[24:25] op_sel_hi:[0,1,1] neg_lo:[0,0,1] neg_hi:[0,0,1]
	v_pk_fma_f32 v[20:21], v[20:21], v[22:23], v[24:25] op_sel_hi:[0,1,1]
	s_cbranch_vccnz .LBB5_8
; %bb.58:                               ;   in Loop: Header=BB5_10 Depth=1
	flat_load_b64 v[22:23], v[16:17]
	v_mov_b64_e32 v[24:25], s[28:29]
	v_mov_b64_e32 v[26:27], s[24:25]
	s_wait_loadcnt_dscnt 0x0
	s_delay_alu instid0(VALU_DEP_2) | instskip(NEXT) | instid1(VALU_DEP_1)
	v_pk_mul_f32 v[24:25], v[24:25], v[22:23] op_sel:[0,1]
	v_pk_fma_f32 v[28:29], v[26:27], v[22:23], v[24:25] op_sel_hi:[1,0,1]
	v_mov_b32_e32 v19, v21
	v_pk_fma_f32 v[20:21], v[26:27], v[22:23], v[24:25] neg_lo:[0,0,1] neg_hi:[0,0,1]
	s_delay_alu instid0(VALU_DEP_3) | instskip(NEXT) | instid1(VALU_DEP_1)
	v_mov_b32_e32 v21, v29
	v_pk_add_f32 v[18:19], v[18:19], v[20:21]
	s_delay_alu instid0(VALU_DEP_1)
	v_mov_b32_e32 v21, v19
	s_branch .LBB5_8
.LBB5_59:
	s_endpgm
	.section	.rodata,"a",@progbits
	.p2align	6, 0x0
	.amdhsa_kernel _ZL20rocblas_hbmvn_kernelILi64ELi16E19rocblas_complex_numIfEPKPKS1_PKPS1_EvbiiT1_T2_lllSA_lllS9_T3_llli
		.amdhsa_group_segment_fixed_size 8192
		.amdhsa_private_segment_fixed_size 0
		.amdhsa_kernarg_size 392
		.amdhsa_user_sgpr_count 2
		.amdhsa_user_sgpr_dispatch_ptr 0
		.amdhsa_user_sgpr_queue_ptr 0
		.amdhsa_user_sgpr_kernarg_segment_ptr 1
		.amdhsa_user_sgpr_dispatch_id 0
		.amdhsa_user_sgpr_kernarg_preload_length 0
		.amdhsa_user_sgpr_kernarg_preload_offset 0
		.amdhsa_user_sgpr_private_segment_size 0
		.amdhsa_wavefront_size32 1
		.amdhsa_uses_dynamic_stack 0
		.amdhsa_enable_private_segment 0
		.amdhsa_system_sgpr_workgroup_id_x 1
		.amdhsa_system_sgpr_workgroup_id_y 0
		.amdhsa_system_sgpr_workgroup_id_z 1
		.amdhsa_system_sgpr_workgroup_info 0
		.amdhsa_system_vgpr_workitem_id 1
		.amdhsa_next_free_vgpr 44
		.amdhsa_next_free_sgpr 50
		.amdhsa_named_barrier_count 0
		.amdhsa_reserve_vcc 1
		.amdhsa_float_round_mode_32 0
		.amdhsa_float_round_mode_16_64 0
		.amdhsa_float_denorm_mode_32 3
		.amdhsa_float_denorm_mode_16_64 3
		.amdhsa_fp16_overflow 0
		.amdhsa_memory_ordered 1
		.amdhsa_forward_progress 1
		.amdhsa_inst_pref_size 19
		.amdhsa_round_robin_scheduling 0
		.amdhsa_exception_fp_ieee_invalid_op 0
		.amdhsa_exception_fp_denorm_src 0
		.amdhsa_exception_fp_ieee_div_zero 0
		.amdhsa_exception_fp_ieee_overflow 0
		.amdhsa_exception_fp_ieee_underflow 0
		.amdhsa_exception_fp_ieee_inexact 0
		.amdhsa_exception_int_div_zero 0
	.end_amdhsa_kernel
	.section	.text._ZL20rocblas_hbmvn_kernelILi64ELi16E19rocblas_complex_numIfEPKPKS1_PKPS1_EvbiiT1_T2_lllSA_lllS9_T3_llli,"axG",@progbits,_ZL20rocblas_hbmvn_kernelILi64ELi16E19rocblas_complex_numIfEPKPKS1_PKPS1_EvbiiT1_T2_lllSA_lllS9_T3_llli,comdat
.Lfunc_end5:
	.size	_ZL20rocblas_hbmvn_kernelILi64ELi16E19rocblas_complex_numIfEPKPKS1_PKPS1_EvbiiT1_T2_lllSA_lllS9_T3_llli, .Lfunc_end5-_ZL20rocblas_hbmvn_kernelILi64ELi16E19rocblas_complex_numIfEPKPKS1_PKPS1_EvbiiT1_T2_lllSA_lllS9_T3_llli
                                        ; -- End function
	.set _ZL20rocblas_hbmvn_kernelILi64ELi16E19rocblas_complex_numIfEPKPKS1_PKPS1_EvbiiT1_T2_lllSA_lllS9_T3_llli.num_vgpr, 44
	.set _ZL20rocblas_hbmvn_kernelILi64ELi16E19rocblas_complex_numIfEPKPKS1_PKPS1_EvbiiT1_T2_lllSA_lllS9_T3_llli.num_agpr, 0
	.set _ZL20rocblas_hbmvn_kernelILi64ELi16E19rocblas_complex_numIfEPKPKS1_PKPS1_EvbiiT1_T2_lllSA_lllS9_T3_llli.numbered_sgpr, 50
	.set _ZL20rocblas_hbmvn_kernelILi64ELi16E19rocblas_complex_numIfEPKPKS1_PKPS1_EvbiiT1_T2_lllSA_lllS9_T3_llli.num_named_barrier, 0
	.set _ZL20rocblas_hbmvn_kernelILi64ELi16E19rocblas_complex_numIfEPKPKS1_PKPS1_EvbiiT1_T2_lllSA_lllS9_T3_llli.private_seg_size, 0
	.set _ZL20rocblas_hbmvn_kernelILi64ELi16E19rocblas_complex_numIfEPKPKS1_PKPS1_EvbiiT1_T2_lllSA_lllS9_T3_llli.uses_vcc, 1
	.set _ZL20rocblas_hbmvn_kernelILi64ELi16E19rocblas_complex_numIfEPKPKS1_PKPS1_EvbiiT1_T2_lllSA_lllS9_T3_llli.uses_flat_scratch, 0
	.set _ZL20rocblas_hbmvn_kernelILi64ELi16E19rocblas_complex_numIfEPKPKS1_PKPS1_EvbiiT1_T2_lllSA_lllS9_T3_llli.has_dyn_sized_stack, 0
	.set _ZL20rocblas_hbmvn_kernelILi64ELi16E19rocblas_complex_numIfEPKPKS1_PKPS1_EvbiiT1_T2_lllSA_lllS9_T3_llli.has_recursion, 0
	.set _ZL20rocblas_hbmvn_kernelILi64ELi16E19rocblas_complex_numIfEPKPKS1_PKPS1_EvbiiT1_T2_lllSA_lllS9_T3_llli.has_indirect_call, 0
	.section	.AMDGPU.csdata,"",@progbits
; Kernel info:
; codeLenInByte = 2352
; TotalNumSgprs: 52
; NumVgprs: 44
; ScratchSize: 0
; MemoryBound: 0
; FloatMode: 240
; IeeeMode: 1
; LDSByteSize: 8192 bytes/workgroup (compile time only)
; SGPRBlocks: 0
; VGPRBlocks: 2
; NumSGPRsForWavesPerEU: 52
; NumVGPRsForWavesPerEU: 44
; NamedBarCnt: 0
; Occupancy: 16
; WaveLimiterHint : 1
; COMPUTE_PGM_RSRC2:SCRATCH_EN: 0
; COMPUTE_PGM_RSRC2:USER_SGPR: 2
; COMPUTE_PGM_RSRC2:TRAP_HANDLER: 0
; COMPUTE_PGM_RSRC2:TGID_X_EN: 1
; COMPUTE_PGM_RSRC2:TGID_Y_EN: 0
; COMPUTE_PGM_RSRC2:TGID_Z_EN: 1
; COMPUTE_PGM_RSRC2:TIDIG_COMP_CNT: 1
	.section	.text._ZL20rocblas_hbmvn_kernelILi64ELi16EPK19rocblas_complex_numIdEPKS3_PKPS1_EvbiiT1_T2_lllSA_lllS9_T3_llli,"axG",@progbits,_ZL20rocblas_hbmvn_kernelILi64ELi16EPK19rocblas_complex_numIdEPKS3_PKPS1_EvbiiT1_T2_lllSA_lllS9_T3_llli,comdat
	.globl	_ZL20rocblas_hbmvn_kernelILi64ELi16EPK19rocblas_complex_numIdEPKS3_PKPS1_EvbiiT1_T2_lllSA_lllS9_T3_llli ; -- Begin function _ZL20rocblas_hbmvn_kernelILi64ELi16EPK19rocblas_complex_numIdEPKS3_PKPS1_EvbiiT1_T2_lllSA_lllS9_T3_llli
	.p2align	8
	.type	_ZL20rocblas_hbmvn_kernelILi64ELi16EPK19rocblas_complex_numIdEPKS3_PKPS1_EvbiiT1_T2_lllSA_lllS9_T3_llli,@function
_ZL20rocblas_hbmvn_kernelILi64ELi16EPK19rocblas_complex_numIdEPKS3_PKPS1_EvbiiT1_T2_lllSA_lllS9_T3_llli: ; @_ZL20rocblas_hbmvn_kernelILi64ELi16EPK19rocblas_complex_numIdEPKS3_PKPS1_EvbiiT1_T2_lllSA_lllS9_T3_llli
; %bb.0:
	s_load_b64 s[2:3], s[0:1], 0x94
	s_wait_kmcnt 0x0
	s_lshr_b32 s4, s2, 16
	s_and_b32 s2, s2, 0xffff
	s_and_b32 s3, s3, 0xffff
	s_mul_i32 s4, s4, s2
	s_delay_alu instid0(SALU_CYCLE_1) | instskip(NEXT) | instid1(SALU_CYCLE_1)
	s_mul_i32 s4, s4, s3
	s_cmp_lg_u32 s4, 0x400
	s_cbranch_scc1 .LBB6_61
; %bb.1:
	s_clause 0x2
	s_load_b256 s[4:11], s[0:1], 0x10
	s_load_b256 s[12:19], s[0:1], 0x58
	s_load_b32 s33, s[0:1], 0x80
	s_bfe_u32 s3, ttmp6, 0x40014
	s_bfe_u32 s29, ttmp6, 0x40008
	s_add_co_i32 s3, s3, 1
	s_wait_kmcnt 0x0
	s_load_b128 s[20:23], s[4:5], 0x0
	s_load_b128 s[24:27], s[12:13], 0x0
	s_wait_xcnt 0x0
	s_lshr_b32 s12, ttmp7, 16
	s_delay_alu instid0(SALU_CYCLE_1)
	s_mul_i32 s28, s12, s3
	s_getreg_b32 s3, hwreg(HW_REG_IB_STS2, 6, 4)
	s_add_co_i32 s29, s29, s28
	s_cmp_eq_u32 s3, 0
	s_cselect_b32 s12, s12, s29
	s_wait_kmcnt 0x0
	v_cmp_neq_f64_e64 s4, s[20:21], 0
	v_cmp_neq_f64_e64 s13, s[22:23], 0
	;; [unrolled: 1-line block ×3, first 2 shown]
	s_or_b32 s39, s4, s13
	s_mov_b32 s4, 0
	s_and_b32 vcc_lo, exec_lo, s39
	s_mov_b32 s13, -1
	s_cbranch_vccz .LBB6_4
; %bb.2:
	s_and_not1_b32 vcc_lo, exec_lo, s13
	s_cbranch_vccz .LBB6_5
.LBB6_3:
	s_and_not1_b32 vcc_lo, exec_lo, s4
	s_cbranch_vccz .LBB6_6
	s_branch .LBB6_61
.LBB6_4:
	v_cmp_neq_f64_e64 s4, s[24:25], 1.0
	s_or_b32 s4, s4, s5
	s_cmp_lt_u32 s12, s33
	s_cselect_b32 s5, -1, 0
	s_delay_alu instid0(SALU_CYCLE_1)
	s_and_b32 s4, s4, s5
	s_cbranch_execnz .LBB6_3
.LBB6_5:
	s_cmp_lt_u32 s12, s33
	s_cselect_b32 s4, -1, 0
	s_delay_alu instid0(SALU_CYCLE_1)
	s_and_not1_b32 vcc_lo, exec_lo, s4
	s_cbranch_vccnz .LBB6_61
.LBB6_6:
	s_clause 0x1
	s_load_b96 s[36:38], s[0:1], 0x0
	s_load_b64 s[34:35], s[0:1], 0x48
	v_and_b32_e32 v1, 0x3ff, v0
	v_bfe_u32 v0, v0, 10, 10
	s_xor_b32 s42, s39, -1
	s_load_b128 s[28:31], s[0:1], 0x38
	v_cmp_neq_f64_e64 s40, s[24:25], 0
	v_cmp_neq_f64_e64 s41, s[26:27], 0
	v_mad_u32_u24 v5, v0, s2, v1
	v_mov_b32_e32 v9, 0
	s_mov_b32 s13, 0
	s_delay_alu instid0(VALU_DEP_1) | instskip(SKIP_1) | instid1(VALU_DEP_2)
	v_dual_mov_b32 v11, v9 :: v_dual_lshrrev_b32 v10, 6, v5
	v_and_b32_e32 v8, 63, v5
	v_mul_u64_e32 v[2:3], s[10:11], v[10:11]
	s_wait_kmcnt 0x0
	s_bitcmp1_b32 s36, 0
	v_mul_u64_e32 v[0:1], s[34:35], v[10:11]
	s_cselect_b32 s0, -1, 0
	s_delay_alu instid0(SALU_CYCLE_1)
	s_and_b32 s1, s0, exec_lo
	s_cselect_b32 s4, s38, 0
	s_bfe_u32 s1, ttmp6, 0x4000c
	s_and_b32 s2, ttmp6, 15
	s_add_co_i32 s1, s1, 1
	s_xor_b32 s36, s0, -1
	s_mul_i32 s1, ttmp9, s1
	s_delay_alu instid0(SALU_CYCLE_1)
	s_add_co_i32 s2, s2, s1
	s_cmp_eq_u32 s3, 0
	s_cselect_b32 s1, ttmp9, s2
	v_cmp_gt_i32_e64 s2, s37, v10
	s_lshl_b32 s44, s1, 6
	v_cmp_gt_u32_e64 s1, 64, v5
	v_dual_add_nc_u32 v4, s44, v5 :: v_dual_bitop2_b32 v12, s44, v8 bitop3:0x54
	v_lshlrev_b32_e32 v11, 4, v5
	s_cmp_eq_u32 s38, 0
	s_delay_alu instid0(VALU_DEP_2)
	v_ashrrev_i32_e32 v13, 31, v12
	s_cselect_b32 s45, -1, 0
	s_or_b32 s43, s40, s41
	v_cmp_gt_i32_e64 s3, s37, v12
	s_lshl_b64 s[8:9], s[8:9], 4
	v_mul_u64_e32 v[14:15], s[10:11], v[12:13]
	v_lshlrev_b64_e32 v[6:7], 4, v[12:13]
	v_lshlrev_b64_e32 v[20:21], 4, v[2:3]
	v_sub_nc_u32_e32 v24, s4, v8
	v_lshlrev_b64_e32 v[18:19], 4, v[0:1]
	v_ashrrev_i32_e32 v5, 31, v4
	s_lshl_b64 s[4:5], s[10:11], 4
	v_add3_u32 v0, s38, s44, v8
	s_add_nc_u64 s[40:41], s[4:5], -16
	v_mov_b32_e32 v25, v21
	v_mad_nc_u64_u32 v[22:23], v10, s40, v[6:7]
	v_or_b32_e32 v18, 8, v18
	v_mul_u64_e32 v[16:17], s[18:19], v[4:5]
	v_subrev_nc_u32_e32 v13, s44, v24
	v_dual_sub_nc_u32 v26, v0, v10 :: v_dual_bitop2_b32 v24, 8, v20 bitop3:0x54
	v_sub_nc_u32_e32 v0, v12, v10
	v_cmp_gt_i32_e64 s4, s37, v4
	s_lshl_b64 s[18:19], s[34:35], 8
	s_lshl_b64 s[10:11], s[10:11], 8
	s_mov_b64 s[34:35], 0xffffffffffffff00
	v_mad_u32 v23, v10, s41, v23
	v_cndmask_b32_e64 v27, v0, v26, s0
	s_add_nc_u64 s[34:35], s[10:11], s[34:35]
	s_or_b32 s44, s36, s45
	s_lshl_b64 s[30:31], s[30:31], 4
	s_lshl_b64 s[16:17], s[16:17], 4
	s_branch .LBB6_8
.LBB6_7:                                ;   in Loop: Header=BB6_8 Depth=1
	s_wait_xcnt 0x0
	s_or_b32 exec_lo, exec_lo, s5
	s_add_co_i32 s12, s12, 0x10000
	s_delay_alu instid0(SALU_CYCLE_1)
	s_cmp_lt_u32 s12, s33
	s_cbranch_scc0 .LBB6_61
.LBB6_8:                                ; =>This Loop Header: Depth=1
                                        ;     Child Loop BB6_18 Depth 2
	s_and_not1_b32 vcc_lo, exec_lo, s42
	s_mov_b32 s5, -1
	s_cbranch_vccz .LBB6_42
; %bb.9:                                ;   in Loop: Header=BB6_8 Depth=1
	v_mov_b64_e32 v[30:31], 0
	v_mov_b64_e32 v[6:7], 0
	s_and_not1_b32 vcc_lo, exec_lo, s5
	s_cbranch_vccz .LBB6_43
.LBB6_10:                               ;   in Loop: Header=BB6_8 Depth=1
	s_and_not1_b32 vcc_lo, exec_lo, s39
	s_cbranch_vccnz .LBB6_12
.LBB6_11:                               ;   in Loop: Header=BB6_8 Depth=1
	s_wait_xcnt 0x0
	s_lshl_b64 s[40:41], s[12:13], 3
	s_delay_alu instid0(SALU_CYCLE_1)
	s_add_nc_u64 s[40:41], s[28:29], s[40:41]
	global_load_b64 v[0:1], v9, s[40:41]
	s_wait_loadcnt 0x0
	v_add_nc_u64_e32 v[30:31], s[30:31], v[0:1]
.LBB6_12:                               ;   in Loop: Header=BB6_8 Depth=1
	s_wait_xcnt 0x0
	s_lshl_b64 s[40:41], s[12:13], 3
	s_and_not1_b32 vcc_lo, exec_lo, s39
	s_add_nc_u64 s[40:41], s[14:15], s[40:41]
	s_wait_loadcnt 0x0
	global_load_b64 v[4:5], v9, s[40:41]
	s_cbranch_vccnz .LBB6_46
; %bb.13:                               ;   in Loop: Header=BB6_8 Depth=1
	v_mov_b64_e32 v[2:3], 0
	v_mov_b64_e32 v[0:1], 0
	s_wait_xcnt 0x0
	s_and_saveexec_b32 s45, s2
	s_cbranch_execz .LBB6_45
; %bb.14:                               ;   in Loop: Header=BB6_8 Depth=1
	v_add_nc_u64_e32 v[30:31], v[30:31], v[18:19]
	v_mov_b64_e32 v[2:3], 0
	v_mov_b64_e32 v[32:33], v[22:23]
	;; [unrolled: 1-line block ×5, first 2 shown]
	v_lshl_add_u64 v[28:29], v[14:15], 4, v[6:7]
	v_dual_mov_b32 v34, v26 :: v_dual_mov_b32 v46, v10
	s_mov_b64 s[40:41], 0
	s_mov_b32 s46, 0
	s_branch .LBB6_18
.LBB6_15:                               ;   in Loop: Header=BB6_18 Depth=2
	s_or_b32 exec_lo, exec_lo, s5
.LBB6_16:                               ;   in Loop: Header=BB6_18 Depth=2
	s_delay_alu instid0(SALU_CYCLE_1)
	s_or_b32 exec_lo, exec_lo, s48
.LBB6_17:                               ;   in Loop: Header=BB6_18 Depth=2
	s_delay_alu instid0(SALU_CYCLE_1)
	s_or_b32 exec_lo, exec_lo, s47
	v_add_nc_u32_e32 v46, 16, v46
	v_add_nc_u64_e32 v[30:31], s[18:19], v[30:31]
	v_add_nc_u64_e32 v[38:39], s[10:11], v[38:39]
	;; [unrolled: 1-line block ×4, first 2 shown]
	v_cmp_le_i32_e32 vcc_lo, s37, v46
	v_add_nc_u32_e32 v34, -16, v34
	s_add_nc_u64 s[40:41], s[40:41], -16
	s_or_b32 s46, vcc_lo, s46
	s_delay_alu instid0(SALU_CYCLE_1)
	s_and_not1_b32 exec_lo, exec_lo, s46
	s_cbranch_execz .LBB6_44
.LBB6_18:                               ;   Parent Loop BB6_8 Depth=1
                                        ; =>  This Inner Loop Header: Depth=2
	s_and_saveexec_b32 s47, s3
	s_cbranch_execz .LBB6_17
; %bb.19:                               ;   in Loop: Header=BB6_18 Depth=2
	v_cmp_gt_i32_e32 vcc_lo, v12, v46
	v_cndmask_b32_e64 v8, 0, 1, vcc_lo
	v_cmp_lt_i32_e32 vcc_lo, v12, v46
	v_cndmask_b32_e64 v35, 0, 1, vcc_lo
	s_delay_alu instid0(VALU_DEP_1) | instskip(NEXT) | instid1(VALU_DEP_1)
	v_cndmask_b32_e64 v8, v35, v8, s0
	v_and_b32_e32 v8, 1, v8
	s_delay_alu instid0(VALU_DEP_1) | instskip(SKIP_1) | instid1(SALU_CYCLE_1)
	v_cmp_eq_u32_e32 vcc_lo, 1, v8
	s_xor_b32 s5, vcc_lo, -1
	s_and_saveexec_b32 s48, s5
	s_delay_alu instid0(SALU_CYCLE_1)
	s_xor_b32 s48, exec_lo, s48
	s_cbranch_execz .LBB6_39
; %bb.20:                               ;   in Loop: Header=BB6_18 Depth=2
	v_add_nc_u32_e32 v8, s40, v27
	s_delay_alu instid0(VALU_DEP_1) | instskip(SKIP_2) | instid1(SALU_CYCLE_1)
	v_cmp_le_i32_e32 vcc_lo, s38, v8
	v_cmp_gt_i32_e64 s5, 1, v8
	s_or_b32 s5, vcc_lo, s5
	s_and_saveexec_b32 s49, s5
	s_delay_alu instid0(SALU_CYCLE_1)
	s_xor_b32 s5, exec_lo, s49
	s_cbranch_execz .LBB6_36
; %bb.21:                               ;   in Loop: Header=BB6_18 Depth=2
	s_mov_b32 s49, exec_lo
	v_cmpx_ne_u32_e32 0, v8
	s_xor_b32 s49, exec_lo, s49
	s_cbranch_execz .LBB6_29
; %bb.22:                               ;   in Loop: Header=BB6_18 Depth=2
	s_mov_b32 s50, exec_lo
	v_cmpx_eq_u32_e64 s38, v8
	s_cbranch_execz .LBB6_28
; %bb.23:                               ;   in Loop: Header=BB6_18 Depth=2
	s_and_b32 vcc_lo, exec_lo, s36
	s_mov_b32 s51, -1
                                        ; implicit-def: $vgpr40_vgpr41
                                        ; implicit-def: $vgpr42_vgpr43
	s_cbranch_vccz .LBB6_25
; %bb.24:                               ;   in Loop: Header=BB6_18 Depth=2
	v_add_nc_u64_e32 v[44:45], v[6:7], v[32:33]
	s_mov_b32 s51, 0
	flat_load_b128 v[40:43], v[30:31] offset:-8
	flat_load_b128 v[48:51], v[44:45]
	s_wait_loadcnt_dscnt 0x0
	s_wait_xcnt 0x0
	v_mul_f64_e32 v[44:45], v[42:43], v[50:51]
	v_mul_f64_e32 v[50:51], v[40:41], v[50:51]
	s_delay_alu instid0(VALU_DEP_2) | instskip(NEXT) | instid1(VALU_DEP_2)
	v_fma_f64 v[40:41], v[40:41], v[48:49], -v[44:45]
	v_fmac_f64_e32 v[50:51], v[42:43], v[48:49]
	s_delay_alu instid0(VALU_DEP_2) | instskip(NEXT) | instid1(VALU_DEP_2)
	v_add_f64_e32 v[42:43], v[0:1], v[40:41]
	v_add_f64_e32 v[40:41], v[2:3], v[50:51]
.LBB6_25:                               ;   in Loop: Header=BB6_18 Depth=2
	s_and_not1_b32 vcc_lo, exec_lo, s51
	s_cbranch_vccnz .LBB6_27
; %bb.26:                               ;   in Loop: Header=BB6_18 Depth=2
	v_ashrrev_i32_e32 v35, 31, v34
	s_delay_alu instid0(VALU_DEP_1) | instskip(NEXT) | instid1(VALU_DEP_1)
	v_lshl_add_u64 v[40:41], v[34:35], 4, v[36:37]
	v_add_nc_u64_e32 v[44:45], v[6:7], v[40:41]
	flat_load_b128 v[40:43], v[30:31] offset:-8
	flat_load_b64 v[48:49], v[44:45]
	s_wait_loadcnt_dscnt 0x0
	v_fmac_f64_e32 v[2:3], v[48:49], v[42:43]
	v_fmac_f64_e32 v[0:1], v[48:49], v[40:41]
	s_delay_alu instid0(VALU_DEP_2) | instskip(NEXT) | instid1(VALU_DEP_2)
	v_mov_b64_e32 v[40:41], v[2:3]
	v_mov_b64_e32 v[42:43], v[0:1]
.LBB6_27:                               ;   in Loop: Header=BB6_18 Depth=2
	s_delay_alu instid0(VALU_DEP_1) | instskip(NEXT) | instid1(VALU_DEP_2)
	v_mov_b64_e32 v[2:3], v[40:41]
	v_mov_b64_e32 v[0:1], v[42:43]
.LBB6_28:                               ;   in Loop: Header=BB6_18 Depth=2
	s_wait_xcnt 0x0
	s_or_b32 exec_lo, exec_lo, s50
.LBB6_29:                               ;   in Loop: Header=BB6_18 Depth=2
	s_and_not1_saveexec_b32 s49, s49
	s_cbranch_execz .LBB6_35
; %bb.30:                               ;   in Loop: Header=BB6_18 Depth=2
	v_add_nc_u64_e32 v[40:41], v[6:7], v[38:39]
	s_and_not1_b32 vcc_lo, exec_lo, s44
	s_mov_b32 s50, -1
                                        ; implicit-def: $vgpr44_vgpr45
                                        ; implicit-def: $vgpr42_vgpr43
	s_cbranch_vccnz .LBB6_32
; %bb.31:                               ;   in Loop: Header=BB6_18 Depth=2
	flat_load_b64 v[48:49], v[40:41] offset:-8
	flat_load_b128 v[42:45], v[30:31] offset:-8
	s_mov_b32 s50, 0
	s_wait_loadcnt_dscnt 0x0
	v_fma_f64 v[42:43], v[48:49], v[42:43], v[0:1]
	v_fma_f64 v[44:45], v[48:49], v[44:45], v[2:3]
.LBB6_32:                               ;   in Loop: Header=BB6_18 Depth=2
	s_and_not1_b32 vcc_lo, exec_lo, s50
	s_cbranch_vccnz .LBB6_34
; %bb.33:                               ;   in Loop: Header=BB6_18 Depth=2
	flat_load_b128 v[42:45], v[30:31] offset:-8
	flat_load_b128 v[48:51], v[40:41] offset:-8
	s_wait_loadcnt_dscnt 0x0
	s_wait_xcnt 0x0
	v_mul_f64_e32 v[40:41], v[44:45], v[50:51]
	v_mul_f64_e32 v[50:51], v[42:43], v[50:51]
	s_delay_alu instid0(VALU_DEP_2) | instskip(NEXT) | instid1(VALU_DEP_2)
	v_fma_f64 v[40:41], v[42:43], v[48:49], -v[40:41]
	v_fmac_f64_e32 v[50:51], v[44:45], v[48:49]
	s_delay_alu instid0(VALU_DEP_2) | instskip(NEXT) | instid1(VALU_DEP_2)
	v_add_f64_e32 v[42:43], v[0:1], v[40:41]
	v_add_f64_e32 v[44:45], v[2:3], v[50:51]
.LBB6_34:                               ;   in Loop: Header=BB6_18 Depth=2
	s_delay_alu instid0(VALU_DEP_1) | instskip(NEXT) | instid1(VALU_DEP_3)
	v_mov_b64_e32 v[2:3], v[44:45]
	v_mov_b64_e32 v[0:1], v[42:43]
.LBB6_35:                               ;   in Loop: Header=BB6_18 Depth=2
	s_wait_xcnt 0x0
	s_or_b32 exec_lo, exec_lo, s49
.LBB6_36:                               ;   in Loop: Header=BB6_18 Depth=2
	s_and_not1_saveexec_b32 s5, s5
	s_cbranch_execz .LBB6_38
; %bb.37:                               ;   in Loop: Header=BB6_18 Depth=2
	v_lshl_add_u64 v[40:41], v[8:9], 4, v[38:39]
	s_delay_alu instid0(VALU_DEP_1)
	v_add_nc_u64_e32 v[44:45], v[6:7], v[40:41]
	flat_load_b128 v[40:43], v[30:31] offset:-8
	flat_load_b128 v[48:51], v[44:45] offset:-8
	s_wait_loadcnt_dscnt 0x0
	s_wait_xcnt 0x0
	v_mul_f64_e32 v[44:45], v[42:43], v[50:51]
	v_mul_f64_e32 v[50:51], v[40:41], v[50:51]
	s_delay_alu instid0(VALU_DEP_2) | instskip(NEXT) | instid1(VALU_DEP_2)
	v_fma_f64 v[40:41], v[40:41], v[48:49], -v[44:45]
	v_fmac_f64_e32 v[50:51], v[42:43], v[48:49]
	s_delay_alu instid0(VALU_DEP_2) | instskip(NEXT) | instid1(VALU_DEP_2)
	v_add_f64_e32 v[0:1], v[0:1], v[40:41]
	v_add_f64_e32 v[2:3], v[2:3], v[50:51]
.LBB6_38:                               ;   in Loop: Header=BB6_18 Depth=2
	s_or_b32 exec_lo, exec_lo, s5
.LBB6_39:                               ;   in Loop: Header=BB6_18 Depth=2
	s_and_not1_saveexec_b32 s48, s48
	s_cbranch_execz .LBB6_16
; %bb.40:                               ;   in Loop: Header=BB6_18 Depth=2
	v_add_nc_u32_e32 v8, v13, v46
	s_delay_alu instid0(VALU_DEP_1) | instskip(SKIP_2) | instid1(SALU_CYCLE_1)
	v_cmp_ge_i32_e32 vcc_lo, s38, v8
	v_cmp_lt_i32_e64 s5, -1, v8
	s_and_b32 s49, vcc_lo, s5
	s_and_saveexec_b32 s5, s49
	s_cbranch_execz .LBB6_15
; %bb.41:                               ;   in Loop: Header=BB6_18 Depth=2
	v_lshl_add_u64 v[44:45], v[8:9], 4, v[28:29]
	flat_load_b128 v[40:43], v[30:31] offset:-8
	flat_load_b128 v[48:51], v[44:45]
	s_wait_loadcnt_dscnt 0x0
	s_wait_xcnt 0x0
	v_mul_f64_e32 v[44:45], v[50:51], v[42:43]
	v_mul_f64_e32 v[50:51], v[50:51], v[40:41]
	s_delay_alu instid0(VALU_DEP_2) | instskip(NEXT) | instid1(VALU_DEP_2)
	v_fmac_f64_e32 v[44:45], v[48:49], v[40:41]
	v_fma_f64 v[40:41], v[48:49], v[42:43], -v[50:51]
	s_delay_alu instid0(VALU_DEP_2) | instskip(NEXT) | instid1(VALU_DEP_2)
	v_add_f64_e32 v[0:1], v[0:1], v[44:45]
	v_add_f64_e32 v[2:3], v[2:3], v[40:41]
	s_branch .LBB6_15
.LBB6_42:                               ;   in Loop: Header=BB6_8 Depth=1
	v_mov_b64_e32 v[30:31], 0
	v_mov_b64_e32 v[6:7], 0
	s_cbranch_execnz .LBB6_10
.LBB6_43:                               ;   in Loop: Header=BB6_8 Depth=1
	s_lshl_b64 s[40:41], s[12:13], 3
	s_delay_alu instid0(SALU_CYCLE_1)
	s_add_nc_u64 s[40:41], s[6:7], s[40:41]
	global_load_b64 v[0:1], v9, s[40:41]
	s_wait_loadcnt 0x0
	v_add_nc_u64_e32 v[6:7], s[8:9], v[0:1]
	s_and_not1_b32 vcc_lo, exec_lo, s39
	s_cbranch_vccz .LBB6_11
	s_branch .LBB6_12
.LBB6_44:                               ;   in Loop: Header=BB6_8 Depth=1
	s_or_b32 exec_lo, exec_lo, s46
.LBB6_45:                               ;   in Loop: Header=BB6_8 Depth=1
	s_delay_alu instid0(SALU_CYCLE_1)
	s_or_b32 exec_lo, exec_lo, s45
	ds_store_b128 v11, v[0:3]
	s_wait_loadcnt_dscnt 0x0
	s_barrier_signal -1
	s_barrier_wait -1
.LBB6_46:                               ;   in Loop: Header=BB6_8 Depth=1
	s_wait_xcnt 0x0
	s_and_saveexec_b32 s5, s1
	s_cbranch_execz .LBB6_7
; %bb.47:                               ;   in Loop: Header=BB6_8 Depth=1
	s_wait_loadcnt 0x0
	v_add_nc_u64_e32 v[28:29], s[16:17], v[4:5]
	s_and_b32 vcc_lo, exec_lo, s42
	s_cbranch_vccz .LBB6_53
; %bb.48:                               ;   in Loop: Header=BB6_8 Depth=1
	s_mov_b32 s41, 0
	s_mov_b32 s40, 0
                                        ; implicit-def: $vgpr2_vgpr3
	s_and_saveexec_b32 s45, s4
	s_delay_alu instid0(SALU_CYCLE_1)
	s_xor_b32 s45, exec_lo, s45
	s_cbranch_execz .LBB6_52
; %bb.49:                               ;   in Loop: Header=BB6_8 Depth=1
	v_mov_b64_e32 v[2:3], 0
	v_mov_b64_e32 v[0:1], 0
	s_and_not1_b32 vcc_lo, exec_lo, s43
	s_cbranch_vccnz .LBB6_51
; %bb.50:                               ;   in Loop: Header=BB6_8 Depth=1
	v_lshl_add_u64 v[0:1], v[16:17], 4, v[28:29]
	flat_load_b128 v[4:7], v[0:1]
	s_wait_loadcnt_dscnt 0x0
	s_wait_xcnt 0x0
	v_mul_f64_e32 v[0:1], s[26:27], v[6:7]
	v_mul_f64_e32 v[2:3], s[24:25], v[6:7]
	s_delay_alu instid0(VALU_DEP_2) | instskip(NEXT) | instid1(VALU_DEP_2)
	v_fma_f64 v[0:1], s[24:25], v[4:5], -v[0:1]
	v_fmac_f64_e32 v[2:3], s[26:27], v[4:5]
.LBB6_51:                               ;   in Loop: Header=BB6_8 Depth=1
	s_mov_b32 s40, exec_lo
.LBB6_52:                               ;   in Loop: Header=BB6_8 Depth=1
	s_or_b32 exec_lo, exec_lo, s45
	s_delay_alu instid0(SALU_CYCLE_1)
	s_and_b32 vcc_lo, exec_lo, s41
	s_cbranch_vccnz .LBB6_54
	s_branch .LBB6_59
.LBB6_53:                               ;   in Loop: Header=BB6_8 Depth=1
	s_mov_b32 s40, 0
                                        ; implicit-def: $vgpr2_vgpr3
	s_cbranch_execz .LBB6_59
.LBB6_54:                               ;   in Loop: Header=BB6_8 Depth=1
	ds_load_b128 v[0:3], v11
	ds_load_b128 v[4:7], v11 offset:1024
	s_wait_dscnt 0x0
	v_add_f64_e32 v[30:31], v[0:1], v[4:5]
	v_add_f64_e32 v[32:33], v[2:3], v[6:7]
	ds_load_b128 v[0:3], v11 offset:2048
	ds_load_b128 v[4:7], v11 offset:3072
	s_wait_dscnt 0x1
	v_add_f64_e32 v[0:1], v[30:31], v[0:1]
	v_add_f64_e32 v[2:3], v[32:33], v[2:3]
	s_wait_dscnt 0x0
	s_delay_alu instid0(VALU_DEP_2) | instskip(NEXT) | instid1(VALU_DEP_2)
	v_add_f64_e32 v[30:31], v[0:1], v[4:5]
	v_add_f64_e32 v[32:33], v[2:3], v[6:7]
	ds_load_b128 v[0:3], v11 offset:4096
	ds_load_b128 v[4:7], v11 offset:5120
	s_wait_dscnt 0x1
	v_add_f64_e32 v[0:1], v[30:31], v[0:1]
	v_add_f64_e32 v[2:3], v[32:33], v[2:3]
	s_wait_dscnt 0x0
	s_delay_alu instid0(VALU_DEP_2) | instskip(NEXT) | instid1(VALU_DEP_2)
	;; [unrolled: 9-line block ×7, first 2 shown]
	v_add_f64_e32 v[4:5], v[0:1], v[4:5]
	v_add_f64_e32 v[6:7], v[2:3], v[6:7]
                                        ; implicit-def: $vgpr2_vgpr3
	ds_store_b128 v11, v[4:7]
	s_and_saveexec_b32 s41, s4
	s_cbranch_execz .LBB6_58
; %bb.55:                               ;   in Loop: Header=BB6_8 Depth=1
	v_mul_f64_e32 v[0:1], s[22:23], v[6:7]
	v_mul_f64_e32 v[2:3], s[20:21], v[6:7]
	s_and_not1_b32 vcc_lo, exec_lo, s43
	s_delay_alu instid0(VALU_DEP_2) | instskip(NEXT) | instid1(VALU_DEP_2)
	v_fma_f64 v[0:1], s[20:21], v[4:5], -v[0:1]
	v_fmac_f64_e32 v[2:3], s[22:23], v[4:5]
	s_cbranch_vccnz .LBB6_57
; %bb.56:                               ;   in Loop: Header=BB6_8 Depth=1
	v_lshl_add_u64 v[4:5], v[16:17], 4, v[28:29]
	flat_load_b128 v[4:7], v[4:5]
	s_wait_loadcnt_dscnt 0x0
	v_mul_f64_e32 v[30:31], s[26:27], v[6:7]
	v_mul_f64_e32 v[6:7], s[24:25], v[6:7]
	s_delay_alu instid0(VALU_DEP_2) | instskip(NEXT) | instid1(VALU_DEP_2)
	v_fma_f64 v[30:31], s[24:25], v[4:5], -v[30:31]
	v_fmac_f64_e32 v[6:7], s[26:27], v[4:5]
	s_delay_alu instid0(VALU_DEP_2) | instskip(NEXT) | instid1(VALU_DEP_2)
	v_add_f64_e32 v[0:1], v[0:1], v[30:31]
	v_add_f64_e32 v[2:3], v[2:3], v[6:7]
.LBB6_57:                               ;   in Loop: Header=BB6_8 Depth=1
	s_or_b32 s40, s40, exec_lo
.LBB6_58:                               ;   in Loop: Header=BB6_8 Depth=1
	s_wait_xcnt 0x0
	s_or_b32 exec_lo, exec_lo, s41
.LBB6_59:                               ;   in Loop: Header=BB6_8 Depth=1
	s_delay_alu instid0(SALU_CYCLE_1)
	s_and_b32 exec_lo, exec_lo, s40
	s_cbranch_execz .LBB6_7
; %bb.60:                               ;   in Loop: Header=BB6_8 Depth=1
	v_lshl_add_u64 v[4:5], v[16:17], 4, v[28:29]
	flat_store_b128 v[4:5], v[0:3]
	s_branch .LBB6_7
.LBB6_61:
	s_endpgm
	.section	.rodata,"a",@progbits
	.p2align	6, 0x0
	.amdhsa_kernel _ZL20rocblas_hbmvn_kernelILi64ELi16EPK19rocblas_complex_numIdEPKS3_PKPS1_EvbiiT1_T2_lllSA_lllS9_T3_llli
		.amdhsa_group_segment_fixed_size 16384
		.amdhsa_private_segment_fixed_size 0
		.amdhsa_kernarg_size 392
		.amdhsa_user_sgpr_count 2
		.amdhsa_user_sgpr_dispatch_ptr 0
		.amdhsa_user_sgpr_queue_ptr 0
		.amdhsa_user_sgpr_kernarg_segment_ptr 1
		.amdhsa_user_sgpr_dispatch_id 0
		.amdhsa_user_sgpr_kernarg_preload_length 0
		.amdhsa_user_sgpr_kernarg_preload_offset 0
		.amdhsa_user_sgpr_private_segment_size 0
		.amdhsa_wavefront_size32 1
		.amdhsa_uses_dynamic_stack 0
		.amdhsa_enable_private_segment 0
		.amdhsa_system_sgpr_workgroup_id_x 1
		.amdhsa_system_sgpr_workgroup_id_y 0
		.amdhsa_system_sgpr_workgroup_id_z 1
		.amdhsa_system_sgpr_workgroup_info 0
		.amdhsa_system_vgpr_workitem_id 1
		.amdhsa_next_free_vgpr 52
		.amdhsa_next_free_sgpr 52
		.amdhsa_named_barrier_count 0
		.amdhsa_reserve_vcc 1
		.amdhsa_float_round_mode_32 0
		.amdhsa_float_round_mode_16_64 0
		.amdhsa_float_denorm_mode_32 3
		.amdhsa_float_denorm_mode_16_64 3
		.amdhsa_fp16_overflow 0
		.amdhsa_memory_ordered 1
		.amdhsa_forward_progress 1
		.amdhsa_inst_pref_size 19
		.amdhsa_round_robin_scheduling 0
		.amdhsa_exception_fp_ieee_invalid_op 0
		.amdhsa_exception_fp_denorm_src 0
		.amdhsa_exception_fp_ieee_div_zero 0
		.amdhsa_exception_fp_ieee_overflow 0
		.amdhsa_exception_fp_ieee_underflow 0
		.amdhsa_exception_fp_ieee_inexact 0
		.amdhsa_exception_int_div_zero 0
	.end_amdhsa_kernel
	.section	.text._ZL20rocblas_hbmvn_kernelILi64ELi16EPK19rocblas_complex_numIdEPKS3_PKPS1_EvbiiT1_T2_lllSA_lllS9_T3_llli,"axG",@progbits,_ZL20rocblas_hbmvn_kernelILi64ELi16EPK19rocblas_complex_numIdEPKS3_PKPS1_EvbiiT1_T2_lllSA_lllS9_T3_llli,comdat
.Lfunc_end6:
	.size	_ZL20rocblas_hbmvn_kernelILi64ELi16EPK19rocblas_complex_numIdEPKS3_PKPS1_EvbiiT1_T2_lllSA_lllS9_T3_llli, .Lfunc_end6-_ZL20rocblas_hbmvn_kernelILi64ELi16EPK19rocblas_complex_numIdEPKS3_PKPS1_EvbiiT1_T2_lllSA_lllS9_T3_llli
                                        ; -- End function
	.set _ZL20rocblas_hbmvn_kernelILi64ELi16EPK19rocblas_complex_numIdEPKS3_PKPS1_EvbiiT1_T2_lllSA_lllS9_T3_llli.num_vgpr, 52
	.set _ZL20rocblas_hbmvn_kernelILi64ELi16EPK19rocblas_complex_numIdEPKS3_PKPS1_EvbiiT1_T2_lllSA_lllS9_T3_llli.num_agpr, 0
	.set _ZL20rocblas_hbmvn_kernelILi64ELi16EPK19rocblas_complex_numIdEPKS3_PKPS1_EvbiiT1_T2_lllSA_lllS9_T3_llli.numbered_sgpr, 52
	.set _ZL20rocblas_hbmvn_kernelILi64ELi16EPK19rocblas_complex_numIdEPKS3_PKPS1_EvbiiT1_T2_lllSA_lllS9_T3_llli.num_named_barrier, 0
	.set _ZL20rocblas_hbmvn_kernelILi64ELi16EPK19rocblas_complex_numIdEPKS3_PKPS1_EvbiiT1_T2_lllSA_lllS9_T3_llli.private_seg_size, 0
	.set _ZL20rocblas_hbmvn_kernelILi64ELi16EPK19rocblas_complex_numIdEPKS3_PKPS1_EvbiiT1_T2_lllSA_lllS9_T3_llli.uses_vcc, 1
	.set _ZL20rocblas_hbmvn_kernelILi64ELi16EPK19rocblas_complex_numIdEPKS3_PKPS1_EvbiiT1_T2_lllSA_lllS9_T3_llli.uses_flat_scratch, 0
	.set _ZL20rocblas_hbmvn_kernelILi64ELi16EPK19rocblas_complex_numIdEPKS3_PKPS1_EvbiiT1_T2_lllSA_lllS9_T3_llli.has_dyn_sized_stack, 0
	.set _ZL20rocblas_hbmvn_kernelILi64ELi16EPK19rocblas_complex_numIdEPKS3_PKPS1_EvbiiT1_T2_lllSA_lllS9_T3_llli.has_recursion, 0
	.set _ZL20rocblas_hbmvn_kernelILi64ELi16EPK19rocblas_complex_numIdEPKS3_PKPS1_EvbiiT1_T2_lllSA_lllS9_T3_llli.has_indirect_call, 0
	.section	.AMDGPU.csdata,"",@progbits
; Kernel info:
; codeLenInByte = 2384
; TotalNumSgprs: 54
; NumVgprs: 52
; ScratchSize: 0
; MemoryBound: 1
; FloatMode: 240
; IeeeMode: 1
; LDSByteSize: 16384 bytes/workgroup (compile time only)
; SGPRBlocks: 0
; VGPRBlocks: 3
; NumSGPRsForWavesPerEU: 54
; NumVGPRsForWavesPerEU: 52
; NamedBarCnt: 0
; Occupancy: 16
; WaveLimiterHint : 1
; COMPUTE_PGM_RSRC2:SCRATCH_EN: 0
; COMPUTE_PGM_RSRC2:USER_SGPR: 2
; COMPUTE_PGM_RSRC2:TRAP_HANDLER: 0
; COMPUTE_PGM_RSRC2:TGID_X_EN: 1
; COMPUTE_PGM_RSRC2:TGID_Y_EN: 0
; COMPUTE_PGM_RSRC2:TGID_Z_EN: 1
; COMPUTE_PGM_RSRC2:TIDIG_COMP_CNT: 1
	.section	.text._ZL20rocblas_hbmvn_kernelILi64ELi16E19rocblas_complex_numIdEPKPKS1_PKPS1_EvbiiT1_T2_lllSA_lllS9_T3_llli,"axG",@progbits,_ZL20rocblas_hbmvn_kernelILi64ELi16E19rocblas_complex_numIdEPKPKS1_PKPS1_EvbiiT1_T2_lllSA_lllS9_T3_llli,comdat
	.globl	_ZL20rocblas_hbmvn_kernelILi64ELi16E19rocblas_complex_numIdEPKPKS1_PKPS1_EvbiiT1_T2_lllSA_lllS9_T3_llli ; -- Begin function _ZL20rocblas_hbmvn_kernelILi64ELi16E19rocblas_complex_numIdEPKPKS1_PKPS1_EvbiiT1_T2_lllSA_lllS9_T3_llli
	.p2align	8
	.type	_ZL20rocblas_hbmvn_kernelILi64ELi16E19rocblas_complex_numIdEPKPKS1_PKPS1_EvbiiT1_T2_lllSA_lllS9_T3_llli,@function
_ZL20rocblas_hbmvn_kernelILi64ELi16E19rocblas_complex_numIdEPKPKS1_PKPS1_EvbiiT1_T2_lllSA_lllS9_T3_llli: ; @_ZL20rocblas_hbmvn_kernelILi64ELi16E19rocblas_complex_numIdEPKPKS1_PKPS1_EvbiiT1_T2_lllSA_lllS9_T3_llli
; %bb.0:
	s_load_b64 s[2:3], s[0:1], 0xa4
	s_wait_kmcnt 0x0
	s_lshr_b32 s4, s2, 16
	s_and_b32 s2, s2, 0xffff
	s_and_b32 s3, s3, 0xffff
	s_mul_i32 s4, s4, s2
	s_delay_alu instid0(SALU_CYCLE_1) | instskip(NEXT) | instid1(SALU_CYCLE_1)
	s_mul_i32 s4, s4, s3
	s_cmp_lg_u32 s4, 0x400
	s_cbranch_scc1 .LBB7_61
; %bb.1:
	s_clause 0x2
	s_load_b256 s[8:15], s[0:1], 0x10
	s_load_b256 s[16:23], s[0:1], 0x60
	s_load_b32 s31, s[0:1], 0x90
	s_bfe_u32 s3, ttmp6, 0x40014
	s_lshr_b32 s6, ttmp7, 16
	s_add_co_i32 s3, s3, 1
	s_bfe_u32 s25, ttmp6, 0x40008
	s_mul_i32 s24, s6, s3
	s_getreg_b32 s3, hwreg(HW_REG_IB_STS2, 6, 4)
	s_add_co_i32 s25, s25, s24
	s_cmp_eq_u32 s3, 0
	s_cselect_b32 s6, s6, s25
	s_wait_kmcnt 0x0
	v_cmp_neq_f64_e64 s4, s[8:9], 0
	v_cmp_neq_f64_e64 s7, s[10:11], 0
	v_cmp_neq_f64_e64 s5, s[18:19], 0
	s_or_b32 s33, s4, s7
	s_mov_b32 s4, 0
	s_and_b32 vcc_lo, exec_lo, s33
	s_mov_b32 s7, -1
	s_cbranch_vccz .LBB7_4
; %bb.2:
	s_and_not1_b32 vcc_lo, exec_lo, s7
	s_cbranch_vccz .LBB7_5
.LBB7_3:
	s_and_not1_b32 vcc_lo, exec_lo, s4
	s_cbranch_vccz .LBB7_6
	s_branch .LBB7_61
.LBB7_4:
	v_cmp_neq_f64_e64 s4, s[16:17], 1.0
	s_or_b32 s4, s4, s5
	s_cmp_lt_u32 s6, s31
	s_cselect_b32 s5, -1, 0
	s_delay_alu instid0(SALU_CYCLE_1)
	s_and_b32 s4, s4, s5
	s_cbranch_execnz .LBB7_3
.LBB7_5:
	s_cmp_lt_u32 s6, s31
	s_cselect_b32 s4, -1, 0
	s_delay_alu instid0(SALU_CYCLE_1)
	s_and_not1_b32 vcc_lo, exec_lo, s4
	s_cbranch_vccnz .LBB7_61
.LBB7_6:
	s_clause 0x2
	s_load_b96 s[28:30], s[0:1], 0x0
	s_load_b64 s[34:35], s[0:1], 0x50
	s_load_b64 s[36:37], s[0:1], 0x30
	v_and_b32_e32 v1, 0x3ff, v0
	v_bfe_u32 v0, v0, 10, 10
	s_xor_b32 s42, s33, -1
	v_cmp_neq_f64_e64 s38, s[16:17], 0
	v_cmp_neq_f64_e64 s39, s[18:19], 0
	s_load_b128 s[24:27], s[0:1], 0x40
	v_mad_u32_u24 v5, v0, s2, v1
	s_delay_alu instid0(VALU_DEP_1) | instskip(NEXT) | instid1(VALU_DEP_1)
	v_dual_mov_b32 v9, 0 :: v_dual_lshrrev_b32 v10, 6, v5
	v_dual_mov_b32 v11, v9 :: v_dual_bitop2_b32 v8, 63, v5 bitop3:0x40
	s_wait_kmcnt 0x0
	s_bitcmp1_b32 s28, 0
	s_delay_alu instid0(VALU_DEP_1)
	v_mul_u64_e32 v[0:1], s[34:35], v[10:11]
	s_cselect_b32 s2, -1, 0
	v_mul_u64_e32 v[2:3], s[36:37], v[10:11]
	s_and_b32 s4, s2, exec_lo
	s_cselect_b32 s40, s30, 0
	s_bfe_u32 s7, ttmp6, 0x4000c
	s_load_b64 s[4:5], s[0:1], 0x80
	s_add_co_i32 s7, s7, 1
	s_wait_xcnt 0x0
	s_and_b32 s0, ttmp6, 15
	s_mul_i32 s1, ttmp9, s7
	s_xor_b32 s28, s2, -1
	s_add_co_i32 s0, s0, s1
	s_cmp_eq_u32 s3, 0
	v_cmp_gt_i32_e64 s1, s29, v10
	s_cselect_b32 s0, ttmp9, s0
	s_mov_b32 s7, 0
	s_lshl_b32 s41, s0, 6
	v_cmp_gt_u32_e64 s0, 64, v5
	v_dual_add_nc_u32 v4, s41, v5 :: v_dual_bitop2_b32 v12, s41, v8 bitop3:0x54
	v_lshlrev_b32_e32 v11, 4, v5
	s_cmp_eq_u32 s30, 0
	s_delay_alu instid0(VALU_DEP_2)
	v_ashrrev_i32_e32 v13, 31, v12
	s_cselect_b32 s44, -1, 0
	s_or_b32 s43, s38, s39
	v_cmp_gt_i32_e64 s3, s29, v12
	s_lshl_b64 s[34:35], s[34:35], 8
	v_mul_u64_e32 v[14:15], s[36:37], v[12:13]
	v_lshlrev_b64_e32 v[6:7], 4, v[12:13]
	s_or_b32 s44, s28, s44
	s_lshl_b64 s[14:15], s[14:15], 4
	v_lshlrev_b64_e32 v[18:19], 4, v[0:1]
	v_ashrrev_i32_e32 v5, 31, v4
	v_lshlrev_b64_e32 v[20:21], 4, v[2:3]
	v_sub_nc_u32_e32 v24, s40, v8
	v_add3_u32 v0, s30, s41, v8
	s_lshl_b64 s[26:27], s[26:27], 4
	s_lshl_b64 s[22:23], s[22:23], 4
	v_or_b32_e32 v18, 8, v18
	s_wait_kmcnt 0x0
	v_mul_u64_e32 v[16:17], s[4:5], v[4:5]
	s_lshl_b64 s[4:5], s[36:37], 4
	v_mov_b32_e32 v25, v21
	s_add_nc_u64 s[38:39], s[4:5], -16
	v_subrev_nc_u32_e32 v13, s41, v24
	v_mad_nc_u64_u32 v[22:23], v10, s38, v[6:7]
	v_dual_sub_nc_u32 v26, v0, v10 :: v_dual_bitop2_b32 v24, 8, v20 bitop3:0x54
	v_sub_nc_u32_e32 v0, v12, v10
	v_cmp_gt_i32_e64 s4, s29, v4
	s_lshl_b64 s[36:37], s[36:37], 8
	s_mov_b64 s[40:41], 0xffffffffffffff00
	v_cndmask_b32_e64 v27, v0, v26, s2
	v_mad_u32 v23, v10, s39, v23
	s_add_nc_u64 s[38:39], s[36:37], s[40:41]
	s_branch .LBB7_8
.LBB7_7:                                ;   in Loop: Header=BB7_8 Depth=1
	s_wait_xcnt 0x0
	s_or_b32 exec_lo, exec_lo, s5
	s_add_co_i32 s6, s6, 0x10000
	s_delay_alu instid0(SALU_CYCLE_1)
	s_cmp_lt_u32 s6, s31
	s_cbranch_scc0 .LBB7_61
.LBB7_8:                                ; =>This Loop Header: Depth=1
                                        ;     Child Loop BB7_18 Depth 2
	s_and_not1_b32 vcc_lo, exec_lo, s42
	s_mov_b32 s5, -1
	s_cbranch_vccz .LBB7_42
; %bb.9:                                ;   in Loop: Header=BB7_8 Depth=1
	v_mov_b64_e32 v[30:31], 0
	v_mov_b64_e32 v[6:7], 0
	s_and_not1_b32 vcc_lo, exec_lo, s5
	s_cbranch_vccz .LBB7_43
.LBB7_10:                               ;   in Loop: Header=BB7_8 Depth=1
	s_and_not1_b32 vcc_lo, exec_lo, s33
	s_cbranch_vccnz .LBB7_12
.LBB7_11:                               ;   in Loop: Header=BB7_8 Depth=1
	s_wait_xcnt 0x0
	s_lshl_b64 s[40:41], s[6:7], 3
	s_delay_alu instid0(SALU_CYCLE_1)
	s_add_nc_u64 s[40:41], s[24:25], s[40:41]
	global_load_b64 v[0:1], v9, s[40:41]
	s_wait_loadcnt 0x0
	v_add_nc_u64_e32 v[30:31], s[26:27], v[0:1]
.LBB7_12:                               ;   in Loop: Header=BB7_8 Depth=1
	s_wait_xcnt 0x0
	s_lshl_b64 s[40:41], s[6:7], 3
	s_and_not1_b32 vcc_lo, exec_lo, s33
	s_add_nc_u64 s[40:41], s[20:21], s[40:41]
	s_wait_loadcnt 0x0
	global_load_b64 v[4:5], v9, s[40:41]
	s_cbranch_vccnz .LBB7_46
; %bb.13:                               ;   in Loop: Header=BB7_8 Depth=1
	v_mov_b64_e32 v[2:3], 0
	v_mov_b64_e32 v[0:1], 0
	s_wait_xcnt 0x0
	s_and_saveexec_b32 s45, s1
	s_cbranch_execz .LBB7_45
; %bb.14:                               ;   in Loop: Header=BB7_8 Depth=1
	v_add_nc_u64_e32 v[30:31], v[30:31], v[18:19]
	v_mov_b64_e32 v[2:3], 0
	v_mov_b64_e32 v[32:33], v[22:23]
	;; [unrolled: 1-line block ×5, first 2 shown]
	v_lshl_add_u64 v[28:29], v[14:15], 4, v[6:7]
	v_dual_mov_b32 v34, v26 :: v_dual_mov_b32 v46, v10
	s_mov_b64 s[40:41], 0
	s_mov_b32 s46, 0
	s_branch .LBB7_18
.LBB7_15:                               ;   in Loop: Header=BB7_18 Depth=2
	s_or_b32 exec_lo, exec_lo, s5
.LBB7_16:                               ;   in Loop: Header=BB7_18 Depth=2
	s_delay_alu instid0(SALU_CYCLE_1)
	s_or_b32 exec_lo, exec_lo, s48
.LBB7_17:                               ;   in Loop: Header=BB7_18 Depth=2
	s_delay_alu instid0(SALU_CYCLE_1)
	s_or_b32 exec_lo, exec_lo, s47
	v_add_nc_u32_e32 v46, 16, v46
	v_add_nc_u64_e32 v[30:31], s[34:35], v[30:31]
	v_add_nc_u64_e32 v[38:39], s[36:37], v[38:39]
	;; [unrolled: 1-line block ×4, first 2 shown]
	v_cmp_le_i32_e32 vcc_lo, s29, v46
	v_add_nc_u32_e32 v34, -16, v34
	s_add_nc_u64 s[40:41], s[40:41], -16
	s_or_b32 s46, vcc_lo, s46
	s_delay_alu instid0(SALU_CYCLE_1)
	s_and_not1_b32 exec_lo, exec_lo, s46
	s_cbranch_execz .LBB7_44
.LBB7_18:                               ;   Parent Loop BB7_8 Depth=1
                                        ; =>  This Inner Loop Header: Depth=2
	s_and_saveexec_b32 s47, s3
	s_cbranch_execz .LBB7_17
; %bb.19:                               ;   in Loop: Header=BB7_18 Depth=2
	v_cmp_gt_i32_e32 vcc_lo, v12, v46
	v_cndmask_b32_e64 v8, 0, 1, vcc_lo
	v_cmp_lt_i32_e32 vcc_lo, v12, v46
	v_cndmask_b32_e64 v35, 0, 1, vcc_lo
	s_delay_alu instid0(VALU_DEP_1) | instskip(NEXT) | instid1(VALU_DEP_1)
	v_cndmask_b32_e64 v8, v35, v8, s2
	v_and_b32_e32 v8, 1, v8
	s_delay_alu instid0(VALU_DEP_1) | instskip(SKIP_1) | instid1(SALU_CYCLE_1)
	v_cmp_eq_u32_e32 vcc_lo, 1, v8
	s_xor_b32 s5, vcc_lo, -1
	s_and_saveexec_b32 s48, s5
	s_delay_alu instid0(SALU_CYCLE_1)
	s_xor_b32 s48, exec_lo, s48
	s_cbranch_execz .LBB7_39
; %bb.20:                               ;   in Loop: Header=BB7_18 Depth=2
	v_add_nc_u32_e32 v8, s40, v27
	s_delay_alu instid0(VALU_DEP_1) | instskip(SKIP_2) | instid1(SALU_CYCLE_1)
	v_cmp_le_i32_e32 vcc_lo, s30, v8
	v_cmp_gt_i32_e64 s5, 1, v8
	s_or_b32 s5, vcc_lo, s5
	s_and_saveexec_b32 s49, s5
	s_delay_alu instid0(SALU_CYCLE_1)
	s_xor_b32 s5, exec_lo, s49
	s_cbranch_execz .LBB7_36
; %bb.21:                               ;   in Loop: Header=BB7_18 Depth=2
	s_mov_b32 s49, exec_lo
	v_cmpx_ne_u32_e32 0, v8
	s_xor_b32 s49, exec_lo, s49
	s_cbranch_execz .LBB7_29
; %bb.22:                               ;   in Loop: Header=BB7_18 Depth=2
	s_mov_b32 s50, exec_lo
	v_cmpx_eq_u32_e64 s30, v8
	s_cbranch_execz .LBB7_28
; %bb.23:                               ;   in Loop: Header=BB7_18 Depth=2
	s_and_b32 vcc_lo, exec_lo, s28
	s_mov_b32 s51, -1
                                        ; implicit-def: $vgpr40_vgpr41
                                        ; implicit-def: $vgpr42_vgpr43
	s_cbranch_vccz .LBB7_25
; %bb.24:                               ;   in Loop: Header=BB7_18 Depth=2
	v_add_nc_u64_e32 v[44:45], v[6:7], v[32:33]
	s_mov_b32 s51, 0
	flat_load_b128 v[40:43], v[30:31] offset:-8
	flat_load_b128 v[48:51], v[44:45]
	s_wait_loadcnt_dscnt 0x0
	s_wait_xcnt 0x0
	v_mul_f64_e32 v[44:45], v[42:43], v[50:51]
	v_mul_f64_e32 v[50:51], v[40:41], v[50:51]
	s_delay_alu instid0(VALU_DEP_2) | instskip(NEXT) | instid1(VALU_DEP_2)
	v_fma_f64 v[40:41], v[40:41], v[48:49], -v[44:45]
	v_fmac_f64_e32 v[50:51], v[42:43], v[48:49]
	s_delay_alu instid0(VALU_DEP_2) | instskip(NEXT) | instid1(VALU_DEP_2)
	v_add_f64_e32 v[42:43], v[0:1], v[40:41]
	v_add_f64_e32 v[40:41], v[2:3], v[50:51]
.LBB7_25:                               ;   in Loop: Header=BB7_18 Depth=2
	s_and_not1_b32 vcc_lo, exec_lo, s51
	s_cbranch_vccnz .LBB7_27
; %bb.26:                               ;   in Loop: Header=BB7_18 Depth=2
	v_ashrrev_i32_e32 v35, 31, v34
	s_delay_alu instid0(VALU_DEP_1) | instskip(NEXT) | instid1(VALU_DEP_1)
	v_lshl_add_u64 v[40:41], v[34:35], 4, v[36:37]
	v_add_nc_u64_e32 v[44:45], v[6:7], v[40:41]
	flat_load_b128 v[40:43], v[30:31] offset:-8
	flat_load_b64 v[48:49], v[44:45]
	s_wait_loadcnt_dscnt 0x0
	v_fmac_f64_e32 v[2:3], v[48:49], v[42:43]
	v_fmac_f64_e32 v[0:1], v[48:49], v[40:41]
	s_delay_alu instid0(VALU_DEP_2) | instskip(NEXT) | instid1(VALU_DEP_2)
	v_mov_b64_e32 v[40:41], v[2:3]
	v_mov_b64_e32 v[42:43], v[0:1]
.LBB7_27:                               ;   in Loop: Header=BB7_18 Depth=2
	s_delay_alu instid0(VALU_DEP_1) | instskip(NEXT) | instid1(VALU_DEP_2)
	v_mov_b64_e32 v[2:3], v[40:41]
	v_mov_b64_e32 v[0:1], v[42:43]
.LBB7_28:                               ;   in Loop: Header=BB7_18 Depth=2
	s_wait_xcnt 0x0
	s_or_b32 exec_lo, exec_lo, s50
.LBB7_29:                               ;   in Loop: Header=BB7_18 Depth=2
	s_and_not1_saveexec_b32 s49, s49
	s_cbranch_execz .LBB7_35
; %bb.30:                               ;   in Loop: Header=BB7_18 Depth=2
	v_add_nc_u64_e32 v[40:41], v[6:7], v[38:39]
	s_and_not1_b32 vcc_lo, exec_lo, s44
	s_mov_b32 s50, -1
                                        ; implicit-def: $vgpr44_vgpr45
                                        ; implicit-def: $vgpr42_vgpr43
	s_cbranch_vccnz .LBB7_32
; %bb.31:                               ;   in Loop: Header=BB7_18 Depth=2
	flat_load_b64 v[48:49], v[40:41] offset:-8
	flat_load_b128 v[42:45], v[30:31] offset:-8
	s_mov_b32 s50, 0
	s_wait_loadcnt_dscnt 0x0
	v_fma_f64 v[42:43], v[48:49], v[42:43], v[0:1]
	v_fma_f64 v[44:45], v[48:49], v[44:45], v[2:3]
.LBB7_32:                               ;   in Loop: Header=BB7_18 Depth=2
	s_and_not1_b32 vcc_lo, exec_lo, s50
	s_cbranch_vccnz .LBB7_34
; %bb.33:                               ;   in Loop: Header=BB7_18 Depth=2
	flat_load_b128 v[42:45], v[30:31] offset:-8
	flat_load_b128 v[48:51], v[40:41] offset:-8
	s_wait_loadcnt_dscnt 0x0
	s_wait_xcnt 0x0
	v_mul_f64_e32 v[40:41], v[44:45], v[50:51]
	v_mul_f64_e32 v[50:51], v[42:43], v[50:51]
	s_delay_alu instid0(VALU_DEP_2) | instskip(NEXT) | instid1(VALU_DEP_2)
	v_fma_f64 v[40:41], v[42:43], v[48:49], -v[40:41]
	v_fmac_f64_e32 v[50:51], v[44:45], v[48:49]
	s_delay_alu instid0(VALU_DEP_2) | instskip(NEXT) | instid1(VALU_DEP_2)
	v_add_f64_e32 v[42:43], v[0:1], v[40:41]
	v_add_f64_e32 v[44:45], v[2:3], v[50:51]
.LBB7_34:                               ;   in Loop: Header=BB7_18 Depth=2
	s_delay_alu instid0(VALU_DEP_1) | instskip(NEXT) | instid1(VALU_DEP_3)
	v_mov_b64_e32 v[2:3], v[44:45]
	v_mov_b64_e32 v[0:1], v[42:43]
.LBB7_35:                               ;   in Loop: Header=BB7_18 Depth=2
	s_wait_xcnt 0x0
	s_or_b32 exec_lo, exec_lo, s49
.LBB7_36:                               ;   in Loop: Header=BB7_18 Depth=2
	s_and_not1_saveexec_b32 s5, s5
	s_cbranch_execz .LBB7_38
; %bb.37:                               ;   in Loop: Header=BB7_18 Depth=2
	v_lshl_add_u64 v[40:41], v[8:9], 4, v[38:39]
	s_delay_alu instid0(VALU_DEP_1)
	v_add_nc_u64_e32 v[44:45], v[6:7], v[40:41]
	flat_load_b128 v[40:43], v[30:31] offset:-8
	flat_load_b128 v[48:51], v[44:45] offset:-8
	s_wait_loadcnt_dscnt 0x0
	s_wait_xcnt 0x0
	v_mul_f64_e32 v[44:45], v[42:43], v[50:51]
	v_mul_f64_e32 v[50:51], v[40:41], v[50:51]
	s_delay_alu instid0(VALU_DEP_2) | instskip(NEXT) | instid1(VALU_DEP_2)
	v_fma_f64 v[40:41], v[40:41], v[48:49], -v[44:45]
	v_fmac_f64_e32 v[50:51], v[42:43], v[48:49]
	s_delay_alu instid0(VALU_DEP_2) | instskip(NEXT) | instid1(VALU_DEP_2)
	v_add_f64_e32 v[0:1], v[0:1], v[40:41]
	v_add_f64_e32 v[2:3], v[2:3], v[50:51]
.LBB7_38:                               ;   in Loop: Header=BB7_18 Depth=2
	s_or_b32 exec_lo, exec_lo, s5
.LBB7_39:                               ;   in Loop: Header=BB7_18 Depth=2
	s_and_not1_saveexec_b32 s48, s48
	s_cbranch_execz .LBB7_16
; %bb.40:                               ;   in Loop: Header=BB7_18 Depth=2
	v_add_nc_u32_e32 v8, v13, v46
	s_delay_alu instid0(VALU_DEP_1) | instskip(SKIP_2) | instid1(SALU_CYCLE_1)
	v_cmp_ge_i32_e32 vcc_lo, s30, v8
	v_cmp_lt_i32_e64 s5, -1, v8
	s_and_b32 s49, vcc_lo, s5
	s_and_saveexec_b32 s5, s49
	s_cbranch_execz .LBB7_15
; %bb.41:                               ;   in Loop: Header=BB7_18 Depth=2
	v_lshl_add_u64 v[44:45], v[8:9], 4, v[28:29]
	flat_load_b128 v[40:43], v[30:31] offset:-8
	flat_load_b128 v[48:51], v[44:45]
	s_wait_loadcnt_dscnt 0x0
	s_wait_xcnt 0x0
	v_mul_f64_e32 v[44:45], v[50:51], v[42:43]
	v_mul_f64_e32 v[50:51], v[50:51], v[40:41]
	s_delay_alu instid0(VALU_DEP_2) | instskip(NEXT) | instid1(VALU_DEP_2)
	v_fmac_f64_e32 v[44:45], v[48:49], v[40:41]
	v_fma_f64 v[40:41], v[48:49], v[42:43], -v[50:51]
	s_delay_alu instid0(VALU_DEP_2) | instskip(NEXT) | instid1(VALU_DEP_2)
	v_add_f64_e32 v[0:1], v[0:1], v[44:45]
	v_add_f64_e32 v[2:3], v[2:3], v[40:41]
	s_branch .LBB7_15
.LBB7_42:                               ;   in Loop: Header=BB7_8 Depth=1
	v_mov_b64_e32 v[30:31], 0
	v_mov_b64_e32 v[6:7], 0
	s_cbranch_execnz .LBB7_10
.LBB7_43:                               ;   in Loop: Header=BB7_8 Depth=1
	s_lshl_b64 s[40:41], s[6:7], 3
	s_delay_alu instid0(SALU_CYCLE_1)
	s_add_nc_u64 s[40:41], s[12:13], s[40:41]
	global_load_b64 v[0:1], v9, s[40:41]
	s_wait_loadcnt 0x0
	v_add_nc_u64_e32 v[6:7], s[14:15], v[0:1]
	s_and_not1_b32 vcc_lo, exec_lo, s33
	s_cbranch_vccz .LBB7_11
	s_branch .LBB7_12
.LBB7_44:                               ;   in Loop: Header=BB7_8 Depth=1
	s_or_b32 exec_lo, exec_lo, s46
.LBB7_45:                               ;   in Loop: Header=BB7_8 Depth=1
	s_delay_alu instid0(SALU_CYCLE_1)
	s_or_b32 exec_lo, exec_lo, s45
	ds_store_b128 v11, v[0:3]
	s_wait_loadcnt_dscnt 0x0
	s_barrier_signal -1
	s_barrier_wait -1
.LBB7_46:                               ;   in Loop: Header=BB7_8 Depth=1
	s_wait_xcnt 0x0
	s_and_saveexec_b32 s5, s0
	s_cbranch_execz .LBB7_7
; %bb.47:                               ;   in Loop: Header=BB7_8 Depth=1
	s_wait_loadcnt 0x0
	v_add_nc_u64_e32 v[28:29], s[22:23], v[4:5]
	s_and_b32 vcc_lo, exec_lo, s42
	s_cbranch_vccz .LBB7_53
; %bb.48:                               ;   in Loop: Header=BB7_8 Depth=1
	s_mov_b32 s41, 0
	s_mov_b32 s40, 0
                                        ; implicit-def: $vgpr2_vgpr3
	s_and_saveexec_b32 s45, s4
	s_delay_alu instid0(SALU_CYCLE_1)
	s_xor_b32 s45, exec_lo, s45
	s_cbranch_execz .LBB7_52
; %bb.49:                               ;   in Loop: Header=BB7_8 Depth=1
	v_mov_b64_e32 v[2:3], 0
	v_mov_b64_e32 v[0:1], 0
	s_and_not1_b32 vcc_lo, exec_lo, s43
	s_cbranch_vccnz .LBB7_51
; %bb.50:                               ;   in Loop: Header=BB7_8 Depth=1
	v_lshl_add_u64 v[0:1], v[16:17], 4, v[28:29]
	flat_load_b128 v[4:7], v[0:1]
	s_wait_loadcnt_dscnt 0x0
	s_wait_xcnt 0x0
	v_mul_f64_e32 v[0:1], s[18:19], v[6:7]
	v_mul_f64_e32 v[2:3], s[16:17], v[6:7]
	s_delay_alu instid0(VALU_DEP_2) | instskip(NEXT) | instid1(VALU_DEP_2)
	v_fma_f64 v[0:1], s[16:17], v[4:5], -v[0:1]
	v_fmac_f64_e32 v[2:3], s[18:19], v[4:5]
.LBB7_51:                               ;   in Loop: Header=BB7_8 Depth=1
	s_mov_b32 s40, exec_lo
.LBB7_52:                               ;   in Loop: Header=BB7_8 Depth=1
	s_or_b32 exec_lo, exec_lo, s45
	s_delay_alu instid0(SALU_CYCLE_1)
	s_and_b32 vcc_lo, exec_lo, s41
	s_cbranch_vccnz .LBB7_54
	s_branch .LBB7_59
.LBB7_53:                               ;   in Loop: Header=BB7_8 Depth=1
	s_mov_b32 s40, 0
                                        ; implicit-def: $vgpr2_vgpr3
	s_cbranch_execz .LBB7_59
.LBB7_54:                               ;   in Loop: Header=BB7_8 Depth=1
	ds_load_b128 v[0:3], v11
	ds_load_b128 v[4:7], v11 offset:1024
	s_wait_dscnt 0x0
	v_add_f64_e32 v[30:31], v[0:1], v[4:5]
	v_add_f64_e32 v[32:33], v[2:3], v[6:7]
	ds_load_b128 v[0:3], v11 offset:2048
	ds_load_b128 v[4:7], v11 offset:3072
	s_wait_dscnt 0x1
	v_add_f64_e32 v[0:1], v[30:31], v[0:1]
	v_add_f64_e32 v[2:3], v[32:33], v[2:3]
	s_wait_dscnt 0x0
	s_delay_alu instid0(VALU_DEP_2) | instskip(NEXT) | instid1(VALU_DEP_2)
	v_add_f64_e32 v[30:31], v[0:1], v[4:5]
	v_add_f64_e32 v[32:33], v[2:3], v[6:7]
	ds_load_b128 v[0:3], v11 offset:4096
	ds_load_b128 v[4:7], v11 offset:5120
	s_wait_dscnt 0x1
	v_add_f64_e32 v[0:1], v[30:31], v[0:1]
	v_add_f64_e32 v[2:3], v[32:33], v[2:3]
	s_wait_dscnt 0x0
	s_delay_alu instid0(VALU_DEP_2) | instskip(NEXT) | instid1(VALU_DEP_2)
	;; [unrolled: 9-line block ×7, first 2 shown]
	v_add_f64_e32 v[4:5], v[0:1], v[4:5]
	v_add_f64_e32 v[6:7], v[2:3], v[6:7]
                                        ; implicit-def: $vgpr2_vgpr3
	ds_store_b128 v11, v[4:7]
	s_and_saveexec_b32 s41, s4
	s_cbranch_execz .LBB7_58
; %bb.55:                               ;   in Loop: Header=BB7_8 Depth=1
	v_mul_f64_e32 v[0:1], s[10:11], v[6:7]
	v_mul_f64_e32 v[2:3], s[8:9], v[6:7]
	s_and_not1_b32 vcc_lo, exec_lo, s43
	s_delay_alu instid0(VALU_DEP_2) | instskip(NEXT) | instid1(VALU_DEP_2)
	v_fma_f64 v[0:1], s[8:9], v[4:5], -v[0:1]
	v_fmac_f64_e32 v[2:3], s[10:11], v[4:5]
	s_cbranch_vccnz .LBB7_57
; %bb.56:                               ;   in Loop: Header=BB7_8 Depth=1
	v_lshl_add_u64 v[4:5], v[16:17], 4, v[28:29]
	flat_load_b128 v[4:7], v[4:5]
	s_wait_loadcnt_dscnt 0x0
	v_mul_f64_e32 v[30:31], s[18:19], v[6:7]
	v_mul_f64_e32 v[6:7], s[16:17], v[6:7]
	s_delay_alu instid0(VALU_DEP_2) | instskip(NEXT) | instid1(VALU_DEP_2)
	v_fma_f64 v[30:31], s[16:17], v[4:5], -v[30:31]
	v_fmac_f64_e32 v[6:7], s[18:19], v[4:5]
	s_delay_alu instid0(VALU_DEP_2) | instskip(NEXT) | instid1(VALU_DEP_2)
	v_add_f64_e32 v[0:1], v[0:1], v[30:31]
	v_add_f64_e32 v[2:3], v[2:3], v[6:7]
.LBB7_57:                               ;   in Loop: Header=BB7_8 Depth=1
	s_or_b32 s40, s40, exec_lo
.LBB7_58:                               ;   in Loop: Header=BB7_8 Depth=1
	s_wait_xcnt 0x0
	s_or_b32 exec_lo, exec_lo, s41
.LBB7_59:                               ;   in Loop: Header=BB7_8 Depth=1
	s_delay_alu instid0(SALU_CYCLE_1)
	s_and_b32 exec_lo, exec_lo, s40
	s_cbranch_execz .LBB7_7
; %bb.60:                               ;   in Loop: Header=BB7_8 Depth=1
	v_lshl_add_u64 v[4:5], v[16:17], 4, v[28:29]
	flat_store_b128 v[4:5], v[0:3]
	s_branch .LBB7_7
.LBB7_61:
	s_endpgm
	.section	.rodata,"a",@progbits
	.p2align	6, 0x0
	.amdhsa_kernel _ZL20rocblas_hbmvn_kernelILi64ELi16E19rocblas_complex_numIdEPKPKS1_PKPS1_EvbiiT1_T2_lllSA_lllS9_T3_llli
		.amdhsa_group_segment_fixed_size 16384
		.amdhsa_private_segment_fixed_size 0
		.amdhsa_kernarg_size 408
		.amdhsa_user_sgpr_count 2
		.amdhsa_user_sgpr_dispatch_ptr 0
		.amdhsa_user_sgpr_queue_ptr 0
		.amdhsa_user_sgpr_kernarg_segment_ptr 1
		.amdhsa_user_sgpr_dispatch_id 0
		.amdhsa_user_sgpr_kernarg_preload_length 0
		.amdhsa_user_sgpr_kernarg_preload_offset 0
		.amdhsa_user_sgpr_private_segment_size 0
		.amdhsa_wavefront_size32 1
		.amdhsa_uses_dynamic_stack 0
		.amdhsa_enable_private_segment 0
		.amdhsa_system_sgpr_workgroup_id_x 1
		.amdhsa_system_sgpr_workgroup_id_y 0
		.amdhsa_system_sgpr_workgroup_id_z 1
		.amdhsa_system_sgpr_workgroup_info 0
		.amdhsa_system_vgpr_workitem_id 1
		.amdhsa_next_free_vgpr 52
		.amdhsa_next_free_sgpr 52
		.amdhsa_named_barrier_count 0
		.amdhsa_reserve_vcc 1
		.amdhsa_float_round_mode_32 0
		.amdhsa_float_round_mode_16_64 0
		.amdhsa_float_denorm_mode_32 3
		.amdhsa_float_denorm_mode_16_64 3
		.amdhsa_fp16_overflow 0
		.amdhsa_memory_ordered 1
		.amdhsa_forward_progress 1
		.amdhsa_inst_pref_size 19
		.amdhsa_round_robin_scheduling 0
		.amdhsa_exception_fp_ieee_invalid_op 0
		.amdhsa_exception_fp_denorm_src 0
		.amdhsa_exception_fp_ieee_div_zero 0
		.amdhsa_exception_fp_ieee_overflow 0
		.amdhsa_exception_fp_ieee_underflow 0
		.amdhsa_exception_fp_ieee_inexact 0
		.amdhsa_exception_int_div_zero 0
	.end_amdhsa_kernel
	.section	.text._ZL20rocblas_hbmvn_kernelILi64ELi16E19rocblas_complex_numIdEPKPKS1_PKPS1_EvbiiT1_T2_lllSA_lllS9_T3_llli,"axG",@progbits,_ZL20rocblas_hbmvn_kernelILi64ELi16E19rocblas_complex_numIdEPKPKS1_PKPS1_EvbiiT1_T2_lllSA_lllS9_T3_llli,comdat
.Lfunc_end7:
	.size	_ZL20rocblas_hbmvn_kernelILi64ELi16E19rocblas_complex_numIdEPKPKS1_PKPS1_EvbiiT1_T2_lllSA_lllS9_T3_llli, .Lfunc_end7-_ZL20rocblas_hbmvn_kernelILi64ELi16E19rocblas_complex_numIdEPKPKS1_PKPS1_EvbiiT1_T2_lllSA_lllS9_T3_llli
                                        ; -- End function
	.set _ZL20rocblas_hbmvn_kernelILi64ELi16E19rocblas_complex_numIdEPKPKS1_PKPS1_EvbiiT1_T2_lllSA_lllS9_T3_llli.num_vgpr, 52
	.set _ZL20rocblas_hbmvn_kernelILi64ELi16E19rocblas_complex_numIdEPKPKS1_PKPS1_EvbiiT1_T2_lllSA_lllS9_T3_llli.num_agpr, 0
	.set _ZL20rocblas_hbmvn_kernelILi64ELi16E19rocblas_complex_numIdEPKPKS1_PKPS1_EvbiiT1_T2_lllSA_lllS9_T3_llli.numbered_sgpr, 52
	.set _ZL20rocblas_hbmvn_kernelILi64ELi16E19rocblas_complex_numIdEPKPKS1_PKPS1_EvbiiT1_T2_lllSA_lllS9_T3_llli.num_named_barrier, 0
	.set _ZL20rocblas_hbmvn_kernelILi64ELi16E19rocblas_complex_numIdEPKPKS1_PKPS1_EvbiiT1_T2_lllSA_lllS9_T3_llli.private_seg_size, 0
	.set _ZL20rocblas_hbmvn_kernelILi64ELi16E19rocblas_complex_numIdEPKPKS1_PKPS1_EvbiiT1_T2_lllSA_lllS9_T3_llli.uses_vcc, 1
	.set _ZL20rocblas_hbmvn_kernelILi64ELi16E19rocblas_complex_numIdEPKPKS1_PKPS1_EvbiiT1_T2_lllSA_lllS9_T3_llli.uses_flat_scratch, 0
	.set _ZL20rocblas_hbmvn_kernelILi64ELi16E19rocblas_complex_numIdEPKPKS1_PKPS1_EvbiiT1_T2_lllSA_lllS9_T3_llli.has_dyn_sized_stack, 0
	.set _ZL20rocblas_hbmvn_kernelILi64ELi16E19rocblas_complex_numIdEPKPKS1_PKPS1_EvbiiT1_T2_lllSA_lllS9_T3_llli.has_recursion, 0
	.set _ZL20rocblas_hbmvn_kernelILi64ELi16E19rocblas_complex_numIdEPKPKS1_PKPS1_EvbiiT1_T2_lllSA_lllS9_T3_llli.has_indirect_call, 0
	.section	.AMDGPU.csdata,"",@progbits
; Kernel info:
; codeLenInByte = 2380
; TotalNumSgprs: 54
; NumVgprs: 52
; ScratchSize: 0
; MemoryBound: 1
; FloatMode: 240
; IeeeMode: 1
; LDSByteSize: 16384 bytes/workgroup (compile time only)
; SGPRBlocks: 0
; VGPRBlocks: 3
; NumSGPRsForWavesPerEU: 54
; NumVGPRsForWavesPerEU: 52
; NamedBarCnt: 0
; Occupancy: 16
; WaveLimiterHint : 1
; COMPUTE_PGM_RSRC2:SCRATCH_EN: 0
; COMPUTE_PGM_RSRC2:USER_SGPR: 2
; COMPUTE_PGM_RSRC2:TRAP_HANDLER: 0
; COMPUTE_PGM_RSRC2:TGID_X_EN: 1
; COMPUTE_PGM_RSRC2:TGID_Y_EN: 0
; COMPUTE_PGM_RSRC2:TGID_Z_EN: 1
; COMPUTE_PGM_RSRC2:TIDIG_COMP_CNT: 1
	.section	.AMDGPU.gpr_maximums,"",@progbits
	.set amdgpu.max_num_vgpr, 0
	.set amdgpu.max_num_agpr, 0
	.set amdgpu.max_num_sgpr, 0
	.section	.AMDGPU.csdata,"",@progbits
	.type	__hip_cuid_55ee5b039b17fd9b,@object ; @__hip_cuid_55ee5b039b17fd9b
	.section	.bss,"aw",@nobits
	.globl	__hip_cuid_55ee5b039b17fd9b
__hip_cuid_55ee5b039b17fd9b:
	.byte	0                               ; 0x0
	.size	__hip_cuid_55ee5b039b17fd9b, 1

	.ident	"AMD clang version 22.0.0git (https://github.com/RadeonOpenCompute/llvm-project roc-7.2.4 26084 f58b06dce1f9c15707c5f808fd002e18c2accf7e)"
	.section	".note.GNU-stack","",@progbits
	.addrsig
	.addrsig_sym __hip_cuid_55ee5b039b17fd9b
	.amdgpu_metadata
---
amdhsa.kernels:
  - .args:
      - .offset:         0
        .size:           1
        .value_kind:     by_value
      - .offset:         4
        .size:           4
        .value_kind:     by_value
      - .offset:         8
        .size:           4
        .value_kind:     by_value
      - .address_space:  global
        .offset:         16
        .size:           8
        .value_kind:     global_buffer
      - .address_space:  global
        .offset:         24
        .size:           8
        .value_kind:     global_buffer
      - .offset:         32
        .size:           8
        .value_kind:     by_value
      - .offset:         40
        .size:           8
        .value_kind:     by_value
      - .offset:         48
        .size:           8
        .value_kind:     by_value
      - .address_space:  global
        .offset:         56
        .size:           8
        .value_kind:     global_buffer
      - .offset:         64
        .size:           8
        .value_kind:     by_value
      - .offset:         72
        .size:           8
        .value_kind:     by_value
      - .offset:         80
        .size:           8
        .value_kind:     by_value
      - .address_space:  global
        .offset:         88
        .size:           8
        .value_kind:     global_buffer
      - .address_space:  global
        .offset:         96
        .size:           8
        .value_kind:     global_buffer
      - .offset:         104
        .size:           8
        .value_kind:     by_value
      - .offset:         112
        .size:           8
        .value_kind:     by_value
      - .offset:         120
        .size:           8
        .value_kind:     by_value
      - .offset:         128
        .size:           4
        .value_kind:     by_value
      - .offset:         136
        .size:           4
        .value_kind:     hidden_block_count_x
      - .offset:         140
        .size:           4
        .value_kind:     hidden_block_count_y
      - .offset:         144
        .size:           4
        .value_kind:     hidden_block_count_z
      - .offset:         148
        .size:           2
        .value_kind:     hidden_group_size_x
      - .offset:         150
        .size:           2
        .value_kind:     hidden_group_size_y
      - .offset:         152
        .size:           2
        .value_kind:     hidden_group_size_z
      - .offset:         154
        .size:           2
        .value_kind:     hidden_remainder_x
      - .offset:         156
        .size:           2
        .value_kind:     hidden_remainder_y
      - .offset:         158
        .size:           2
        .value_kind:     hidden_remainder_z
      - .offset:         176
        .size:           8
        .value_kind:     hidden_global_offset_x
      - .offset:         184
        .size:           8
        .value_kind:     hidden_global_offset_y
      - .offset:         192
        .size:           8
        .value_kind:     hidden_global_offset_z
      - .offset:         200
        .size:           2
        .value_kind:     hidden_grid_dims
    .group_segment_fixed_size: 8192
    .kernarg_segment_align: 8
    .kernarg_segment_size: 392
    .language:       OpenCL C
    .language_version:
      - 2
      - 0
    .max_flat_workgroup_size: 1024
    .name:           _ZL20rocblas_hbmvn_kernelILi64ELi16EPK19rocblas_complex_numIfES3_PS1_EvbiiT1_T2_lllS6_lllS5_T3_llli
    .private_segment_fixed_size: 0
    .sgpr_count:     54
    .sgpr_spill_count: 0
    .symbol:         _ZL20rocblas_hbmvn_kernelILi64ELi16EPK19rocblas_complex_numIfES3_PS1_EvbiiT1_T2_lllS6_lllS5_T3_llli.kd
    .uniform_work_group_size: 1
    .uses_dynamic_stack: false
    .vgpr_count:     40
    .vgpr_spill_count: 0
    .wavefront_size: 32
  - .args:
      - .offset:         0
        .size:           1
        .value_kind:     by_value
      - .offset:         4
        .size:           4
        .value_kind:     by_value
      - .offset:         8
        .size:           4
        .value_kind:     by_value
      - .offset:         12
        .size:           8
        .value_kind:     by_value
      - .address_space:  global
        .offset:         24
        .size:           8
        .value_kind:     global_buffer
      - .offset:         32
        .size:           8
        .value_kind:     by_value
      - .offset:         40
        .size:           8
        .value_kind:     by_value
      - .offset:         48
        .size:           8
        .value_kind:     by_value
      - .address_space:  global
        .offset:         56
        .size:           8
        .value_kind:     global_buffer
      - .offset:         64
        .size:           8
        .value_kind:     by_value
      - .offset:         72
        .size:           8
        .value_kind:     by_value
      - .offset:         80
        .size:           8
        .value_kind:     by_value
      - .offset:         88
        .size:           8
        .value_kind:     by_value
      - .address_space:  global
        .offset:         96
        .size:           8
        .value_kind:     global_buffer
      - .offset:         104
        .size:           8
        .value_kind:     by_value
      - .offset:         112
        .size:           8
        .value_kind:     by_value
      - .offset:         120
        .size:           8
        .value_kind:     by_value
      - .offset:         128
        .size:           4
        .value_kind:     by_value
      - .offset:         136
        .size:           4
        .value_kind:     hidden_block_count_x
      - .offset:         140
        .size:           4
        .value_kind:     hidden_block_count_y
      - .offset:         144
        .size:           4
        .value_kind:     hidden_block_count_z
      - .offset:         148
        .size:           2
        .value_kind:     hidden_group_size_x
      - .offset:         150
        .size:           2
        .value_kind:     hidden_group_size_y
      - .offset:         152
        .size:           2
        .value_kind:     hidden_group_size_z
      - .offset:         154
        .size:           2
        .value_kind:     hidden_remainder_x
      - .offset:         156
        .size:           2
        .value_kind:     hidden_remainder_y
      - .offset:         158
        .size:           2
        .value_kind:     hidden_remainder_z
      - .offset:         176
        .size:           8
        .value_kind:     hidden_global_offset_x
      - .offset:         184
        .size:           8
        .value_kind:     hidden_global_offset_y
      - .offset:         192
        .size:           8
        .value_kind:     hidden_global_offset_z
      - .offset:         200
        .size:           2
        .value_kind:     hidden_grid_dims
    .group_segment_fixed_size: 8192
    .kernarg_segment_align: 8
    .kernarg_segment_size: 392
    .language:       OpenCL C
    .language_version:
      - 2
      - 0
    .max_flat_workgroup_size: 1024
    .name:           _ZL20rocblas_hbmvn_kernelILi64ELi16E19rocblas_complex_numIfEPKS1_PS1_EvbiiT1_T2_lllS6_lllS5_T3_llli
    .private_segment_fixed_size: 0
    .sgpr_count:     54
    .sgpr_spill_count: 0
    .symbol:         _ZL20rocblas_hbmvn_kernelILi64ELi16E19rocblas_complex_numIfEPKS1_PS1_EvbiiT1_T2_lllS6_lllS5_T3_llli.kd
    .uniform_work_group_size: 1
    .uses_dynamic_stack: false
    .vgpr_count:     40
    .vgpr_spill_count: 0
    .wavefront_size: 32
  - .args:
      - .offset:         0
        .size:           1
        .value_kind:     by_value
      - .offset:         4
        .size:           4
        .value_kind:     by_value
      - .offset:         8
        .size:           4
        .value_kind:     by_value
      - .address_space:  global
        .offset:         16
        .size:           8
        .value_kind:     global_buffer
      - .address_space:  global
        .offset:         24
        .size:           8
        .value_kind:     global_buffer
      - .offset:         32
        .size:           8
        .value_kind:     by_value
      - .offset:         40
        .size:           8
        .value_kind:     by_value
      - .offset:         48
        .size:           8
        .value_kind:     by_value
      - .address_space:  global
        .offset:         56
        .size:           8
        .value_kind:     global_buffer
      - .offset:         64
        .size:           8
        .value_kind:     by_value
      - .offset:         72
        .size:           8
        .value_kind:     by_value
      - .offset:         80
        .size:           8
        .value_kind:     by_value
      - .address_space:  global
        .offset:         88
        .size:           8
        .value_kind:     global_buffer
      - .address_space:  global
        .offset:         96
        .size:           8
        .value_kind:     global_buffer
      - .offset:         104
        .size:           8
        .value_kind:     by_value
      - .offset:         112
        .size:           8
        .value_kind:     by_value
      - .offset:         120
        .size:           8
        .value_kind:     by_value
      - .offset:         128
        .size:           4
        .value_kind:     by_value
      - .offset:         136
        .size:           4
        .value_kind:     hidden_block_count_x
      - .offset:         140
        .size:           4
        .value_kind:     hidden_block_count_y
      - .offset:         144
        .size:           4
        .value_kind:     hidden_block_count_z
      - .offset:         148
        .size:           2
        .value_kind:     hidden_group_size_x
      - .offset:         150
        .size:           2
        .value_kind:     hidden_group_size_y
      - .offset:         152
        .size:           2
        .value_kind:     hidden_group_size_z
      - .offset:         154
        .size:           2
        .value_kind:     hidden_remainder_x
      - .offset:         156
        .size:           2
        .value_kind:     hidden_remainder_y
      - .offset:         158
        .size:           2
        .value_kind:     hidden_remainder_z
      - .offset:         176
        .size:           8
        .value_kind:     hidden_global_offset_x
      - .offset:         184
        .size:           8
        .value_kind:     hidden_global_offset_y
      - .offset:         192
        .size:           8
        .value_kind:     hidden_global_offset_z
      - .offset:         200
        .size:           2
        .value_kind:     hidden_grid_dims
    .group_segment_fixed_size: 16384
    .kernarg_segment_align: 8
    .kernarg_segment_size: 392
    .language:       OpenCL C
    .language_version:
      - 2
      - 0
    .max_flat_workgroup_size: 1024
    .name:           _ZL20rocblas_hbmvn_kernelILi64ELi16EPK19rocblas_complex_numIdES3_PS1_EvbiiT1_T2_lllS6_lllS5_T3_llli
    .private_segment_fixed_size: 0
    .sgpr_count:     56
    .sgpr_spill_count: 0
    .symbol:         _ZL20rocblas_hbmvn_kernelILi64ELi16EPK19rocblas_complex_numIdES3_PS1_EvbiiT1_T2_lllS6_lllS5_T3_llli.kd
    .uniform_work_group_size: 1
    .uses_dynamic_stack: false
    .vgpr_count:     48
    .vgpr_spill_count: 0
    .wavefront_size: 32
  - .args:
      - .offset:         0
        .size:           1
        .value_kind:     by_value
      - .offset:         4
        .size:           4
        .value_kind:     by_value
      - .offset:         8
        .size:           4
        .value_kind:     by_value
      - .offset:         16
        .size:           16
        .value_kind:     by_value
      - .address_space:  global
        .offset:         32
        .size:           8
        .value_kind:     global_buffer
      - .offset:         40
        .size:           8
        .value_kind:     by_value
      - .offset:         48
        .size:           8
        .value_kind:     by_value
      - .offset:         56
        .size:           8
        .value_kind:     by_value
      - .address_space:  global
        .offset:         64
        .size:           8
        .value_kind:     global_buffer
      - .offset:         72
        .size:           8
        .value_kind:     by_value
      - .offset:         80
        .size:           8
        .value_kind:     by_value
      - .offset:         88
        .size:           8
        .value_kind:     by_value
      - .offset:         96
        .size:           16
        .value_kind:     by_value
      - .address_space:  global
        .offset:         112
        .size:           8
        .value_kind:     global_buffer
      - .offset:         120
        .size:           8
        .value_kind:     by_value
      - .offset:         128
        .size:           8
        .value_kind:     by_value
      - .offset:         136
        .size:           8
        .value_kind:     by_value
      - .offset:         144
        .size:           4
        .value_kind:     by_value
      - .offset:         152
        .size:           4
        .value_kind:     hidden_block_count_x
      - .offset:         156
        .size:           4
        .value_kind:     hidden_block_count_y
      - .offset:         160
        .size:           4
        .value_kind:     hidden_block_count_z
      - .offset:         164
        .size:           2
        .value_kind:     hidden_group_size_x
      - .offset:         166
        .size:           2
        .value_kind:     hidden_group_size_y
      - .offset:         168
        .size:           2
        .value_kind:     hidden_group_size_z
      - .offset:         170
        .size:           2
        .value_kind:     hidden_remainder_x
      - .offset:         172
        .size:           2
        .value_kind:     hidden_remainder_y
      - .offset:         174
        .size:           2
        .value_kind:     hidden_remainder_z
      - .offset:         192
        .size:           8
        .value_kind:     hidden_global_offset_x
      - .offset:         200
        .size:           8
        .value_kind:     hidden_global_offset_y
      - .offset:         208
        .size:           8
        .value_kind:     hidden_global_offset_z
      - .offset:         216
        .size:           2
        .value_kind:     hidden_grid_dims
    .group_segment_fixed_size: 16384
    .kernarg_segment_align: 8
    .kernarg_segment_size: 408
    .language:       OpenCL C
    .language_version:
      - 2
      - 0
    .max_flat_workgroup_size: 1024
    .name:           _ZL20rocblas_hbmvn_kernelILi64ELi16E19rocblas_complex_numIdEPKS1_PS1_EvbiiT1_T2_lllS6_lllS5_T3_llli
    .private_segment_fixed_size: 0
    .sgpr_count:     56
    .sgpr_spill_count: 0
    .symbol:         _ZL20rocblas_hbmvn_kernelILi64ELi16E19rocblas_complex_numIdEPKS1_PS1_EvbiiT1_T2_lllS6_lllS5_T3_llli.kd
    .uniform_work_group_size: 1
    .uses_dynamic_stack: false
    .vgpr_count:     48
    .vgpr_spill_count: 0
    .wavefront_size: 32
  - .args:
      - .offset:         0
        .size:           1
        .value_kind:     by_value
      - .offset:         4
        .size:           4
        .value_kind:     by_value
      - .offset:         8
        .size:           4
        .value_kind:     by_value
      - .address_space:  global
        .offset:         16
        .size:           8
        .value_kind:     global_buffer
      - .address_space:  global
        .offset:         24
        .size:           8
        .value_kind:     global_buffer
      - .offset:         32
        .size:           8
        .value_kind:     by_value
      - .offset:         40
        .size:           8
        .value_kind:     by_value
      - .offset:         48
        .size:           8
        .value_kind:     by_value
      - .address_space:  global
        .offset:         56
        .size:           8
        .value_kind:     global_buffer
      - .offset:         64
        .size:           8
        .value_kind:     by_value
      - .offset:         72
        .size:           8
        .value_kind:     by_value
      - .offset:         80
        .size:           8
        .value_kind:     by_value
      - .address_space:  global
        .offset:         88
        .size:           8
        .value_kind:     global_buffer
      - .address_space:  global
        .offset:         96
        .size:           8
        .value_kind:     global_buffer
      - .offset:         104
        .size:           8
        .value_kind:     by_value
      - .offset:         112
        .size:           8
        .value_kind:     by_value
      - .offset:         120
        .size:           8
        .value_kind:     by_value
      - .offset:         128
        .size:           4
        .value_kind:     by_value
      - .offset:         136
        .size:           4
        .value_kind:     hidden_block_count_x
      - .offset:         140
        .size:           4
        .value_kind:     hidden_block_count_y
      - .offset:         144
        .size:           4
        .value_kind:     hidden_block_count_z
      - .offset:         148
        .size:           2
        .value_kind:     hidden_group_size_x
      - .offset:         150
        .size:           2
        .value_kind:     hidden_group_size_y
      - .offset:         152
        .size:           2
        .value_kind:     hidden_group_size_z
      - .offset:         154
        .size:           2
        .value_kind:     hidden_remainder_x
      - .offset:         156
        .size:           2
        .value_kind:     hidden_remainder_y
      - .offset:         158
        .size:           2
        .value_kind:     hidden_remainder_z
      - .offset:         176
        .size:           8
        .value_kind:     hidden_global_offset_x
      - .offset:         184
        .size:           8
        .value_kind:     hidden_global_offset_y
      - .offset:         192
        .size:           8
        .value_kind:     hidden_global_offset_z
      - .offset:         200
        .size:           2
        .value_kind:     hidden_grid_dims
    .group_segment_fixed_size: 8192
    .kernarg_segment_align: 8
    .kernarg_segment_size: 392
    .language:       OpenCL C
    .language_version:
      - 2
      - 0
    .max_flat_workgroup_size: 1024
    .name:           _ZL20rocblas_hbmvn_kernelILi64ELi16EPK19rocblas_complex_numIfEPKS3_PKPS1_EvbiiT1_T2_lllSA_lllS9_T3_llli
    .private_segment_fixed_size: 0
    .sgpr_count:     52
    .sgpr_spill_count: 0
    .symbol:         _ZL20rocblas_hbmvn_kernelILi64ELi16EPK19rocblas_complex_numIfEPKS3_PKPS1_EvbiiT1_T2_lllSA_lllS9_T3_llli.kd
    .uniform_work_group_size: 1
    .uses_dynamic_stack: false
    .vgpr_count:     44
    .vgpr_spill_count: 0
    .wavefront_size: 32
  - .args:
      - .offset:         0
        .size:           1
        .value_kind:     by_value
      - .offset:         4
        .size:           4
        .value_kind:     by_value
      - .offset:         8
        .size:           4
        .value_kind:     by_value
      - .offset:         12
        .size:           8
        .value_kind:     by_value
      - .address_space:  global
        .offset:         24
        .size:           8
        .value_kind:     global_buffer
      - .offset:         32
        .size:           8
        .value_kind:     by_value
      - .offset:         40
        .size:           8
        .value_kind:     by_value
      - .offset:         48
        .size:           8
        .value_kind:     by_value
      - .address_space:  global
        .offset:         56
        .size:           8
        .value_kind:     global_buffer
      - .offset:         64
        .size:           8
        .value_kind:     by_value
      - .offset:         72
        .size:           8
        .value_kind:     by_value
      - .offset:         80
        .size:           8
        .value_kind:     by_value
      - .offset:         88
        .size:           8
        .value_kind:     by_value
      - .address_space:  global
        .offset:         96
        .size:           8
        .value_kind:     global_buffer
      - .offset:         104
        .size:           8
        .value_kind:     by_value
      - .offset:         112
        .size:           8
        .value_kind:     by_value
      - .offset:         120
        .size:           8
        .value_kind:     by_value
      - .offset:         128
        .size:           4
        .value_kind:     by_value
      - .offset:         136
        .size:           4
        .value_kind:     hidden_block_count_x
      - .offset:         140
        .size:           4
        .value_kind:     hidden_block_count_y
      - .offset:         144
        .size:           4
        .value_kind:     hidden_block_count_z
      - .offset:         148
        .size:           2
        .value_kind:     hidden_group_size_x
      - .offset:         150
        .size:           2
        .value_kind:     hidden_group_size_y
      - .offset:         152
        .size:           2
        .value_kind:     hidden_group_size_z
      - .offset:         154
        .size:           2
        .value_kind:     hidden_remainder_x
      - .offset:         156
        .size:           2
        .value_kind:     hidden_remainder_y
      - .offset:         158
        .size:           2
        .value_kind:     hidden_remainder_z
      - .offset:         176
        .size:           8
        .value_kind:     hidden_global_offset_x
      - .offset:         184
        .size:           8
        .value_kind:     hidden_global_offset_y
      - .offset:         192
        .size:           8
        .value_kind:     hidden_global_offset_z
      - .offset:         200
        .size:           2
        .value_kind:     hidden_grid_dims
    .group_segment_fixed_size: 8192
    .kernarg_segment_align: 8
    .kernarg_segment_size: 392
    .language:       OpenCL C
    .language_version:
      - 2
      - 0
    .max_flat_workgroup_size: 1024
    .name:           _ZL20rocblas_hbmvn_kernelILi64ELi16E19rocblas_complex_numIfEPKPKS1_PKPS1_EvbiiT1_T2_lllSA_lllS9_T3_llli
    .private_segment_fixed_size: 0
    .sgpr_count:     52
    .sgpr_spill_count: 0
    .symbol:         _ZL20rocblas_hbmvn_kernelILi64ELi16E19rocblas_complex_numIfEPKPKS1_PKPS1_EvbiiT1_T2_lllSA_lllS9_T3_llli.kd
    .uniform_work_group_size: 1
    .uses_dynamic_stack: false
    .vgpr_count:     44
    .vgpr_spill_count: 0
    .wavefront_size: 32
  - .args:
      - .offset:         0
        .size:           1
        .value_kind:     by_value
      - .offset:         4
        .size:           4
        .value_kind:     by_value
      - .offset:         8
        .size:           4
        .value_kind:     by_value
      - .address_space:  global
        .offset:         16
        .size:           8
        .value_kind:     global_buffer
      - .address_space:  global
        .offset:         24
        .size:           8
        .value_kind:     global_buffer
      - .offset:         32
        .size:           8
        .value_kind:     by_value
      - .offset:         40
        .size:           8
        .value_kind:     by_value
      - .offset:         48
        .size:           8
        .value_kind:     by_value
      - .address_space:  global
        .offset:         56
        .size:           8
        .value_kind:     global_buffer
      - .offset:         64
        .size:           8
        .value_kind:     by_value
      - .offset:         72
        .size:           8
        .value_kind:     by_value
      - .offset:         80
        .size:           8
        .value_kind:     by_value
      - .address_space:  global
        .offset:         88
        .size:           8
        .value_kind:     global_buffer
      - .address_space:  global
        .offset:         96
        .size:           8
        .value_kind:     global_buffer
      - .offset:         104
        .size:           8
        .value_kind:     by_value
      - .offset:         112
        .size:           8
        .value_kind:     by_value
      - .offset:         120
        .size:           8
        .value_kind:     by_value
      - .offset:         128
        .size:           4
        .value_kind:     by_value
      - .offset:         136
        .size:           4
        .value_kind:     hidden_block_count_x
      - .offset:         140
        .size:           4
        .value_kind:     hidden_block_count_y
      - .offset:         144
        .size:           4
        .value_kind:     hidden_block_count_z
      - .offset:         148
        .size:           2
        .value_kind:     hidden_group_size_x
      - .offset:         150
        .size:           2
        .value_kind:     hidden_group_size_y
      - .offset:         152
        .size:           2
        .value_kind:     hidden_group_size_z
      - .offset:         154
        .size:           2
        .value_kind:     hidden_remainder_x
      - .offset:         156
        .size:           2
        .value_kind:     hidden_remainder_y
      - .offset:         158
        .size:           2
        .value_kind:     hidden_remainder_z
      - .offset:         176
        .size:           8
        .value_kind:     hidden_global_offset_x
      - .offset:         184
        .size:           8
        .value_kind:     hidden_global_offset_y
      - .offset:         192
        .size:           8
        .value_kind:     hidden_global_offset_z
      - .offset:         200
        .size:           2
        .value_kind:     hidden_grid_dims
    .group_segment_fixed_size: 16384
    .kernarg_segment_align: 8
    .kernarg_segment_size: 392
    .language:       OpenCL C
    .language_version:
      - 2
      - 0
    .max_flat_workgroup_size: 1024
    .name:           _ZL20rocblas_hbmvn_kernelILi64ELi16EPK19rocblas_complex_numIdEPKS3_PKPS1_EvbiiT1_T2_lllSA_lllS9_T3_llli
    .private_segment_fixed_size: 0
    .sgpr_count:     54
    .sgpr_spill_count: 0
    .symbol:         _ZL20rocblas_hbmvn_kernelILi64ELi16EPK19rocblas_complex_numIdEPKS3_PKPS1_EvbiiT1_T2_lllSA_lllS9_T3_llli.kd
    .uniform_work_group_size: 1
    .uses_dynamic_stack: false
    .vgpr_count:     52
    .vgpr_spill_count: 0
    .wavefront_size: 32
  - .args:
      - .offset:         0
        .size:           1
        .value_kind:     by_value
      - .offset:         4
        .size:           4
        .value_kind:     by_value
      - .offset:         8
        .size:           4
        .value_kind:     by_value
      - .offset:         16
        .size:           16
        .value_kind:     by_value
      - .address_space:  global
        .offset:         32
        .size:           8
        .value_kind:     global_buffer
      - .offset:         40
        .size:           8
        .value_kind:     by_value
      - .offset:         48
        .size:           8
        .value_kind:     by_value
      - .offset:         56
        .size:           8
        .value_kind:     by_value
      - .address_space:  global
        .offset:         64
        .size:           8
        .value_kind:     global_buffer
      - .offset:         72
        .size:           8
        .value_kind:     by_value
      - .offset:         80
        .size:           8
        .value_kind:     by_value
      - .offset:         88
        .size:           8
        .value_kind:     by_value
      - .offset:         96
        .size:           16
        .value_kind:     by_value
      - .address_space:  global
        .offset:         112
        .size:           8
        .value_kind:     global_buffer
      - .offset:         120
        .size:           8
        .value_kind:     by_value
      - .offset:         128
        .size:           8
        .value_kind:     by_value
      - .offset:         136
        .size:           8
        .value_kind:     by_value
      - .offset:         144
        .size:           4
        .value_kind:     by_value
      - .offset:         152
        .size:           4
        .value_kind:     hidden_block_count_x
      - .offset:         156
        .size:           4
        .value_kind:     hidden_block_count_y
      - .offset:         160
        .size:           4
        .value_kind:     hidden_block_count_z
      - .offset:         164
        .size:           2
        .value_kind:     hidden_group_size_x
      - .offset:         166
        .size:           2
        .value_kind:     hidden_group_size_y
      - .offset:         168
        .size:           2
        .value_kind:     hidden_group_size_z
      - .offset:         170
        .size:           2
        .value_kind:     hidden_remainder_x
      - .offset:         172
        .size:           2
        .value_kind:     hidden_remainder_y
      - .offset:         174
        .size:           2
        .value_kind:     hidden_remainder_z
      - .offset:         192
        .size:           8
        .value_kind:     hidden_global_offset_x
      - .offset:         200
        .size:           8
        .value_kind:     hidden_global_offset_y
      - .offset:         208
        .size:           8
        .value_kind:     hidden_global_offset_z
      - .offset:         216
        .size:           2
        .value_kind:     hidden_grid_dims
    .group_segment_fixed_size: 16384
    .kernarg_segment_align: 8
    .kernarg_segment_size: 408
    .language:       OpenCL C
    .language_version:
      - 2
      - 0
    .max_flat_workgroup_size: 1024
    .name:           _ZL20rocblas_hbmvn_kernelILi64ELi16E19rocblas_complex_numIdEPKPKS1_PKPS1_EvbiiT1_T2_lllSA_lllS9_T3_llli
    .private_segment_fixed_size: 0
    .sgpr_count:     54
    .sgpr_spill_count: 0
    .symbol:         _ZL20rocblas_hbmvn_kernelILi64ELi16E19rocblas_complex_numIdEPKPKS1_PKPS1_EvbiiT1_T2_lllSA_lllS9_T3_llli.kd
    .uniform_work_group_size: 1
    .uses_dynamic_stack: false
    .vgpr_count:     52
    .vgpr_spill_count: 0
    .wavefront_size: 32
amdhsa.target:   amdgcn-amd-amdhsa--gfx1250
amdhsa.version:
  - 1
  - 2
...

	.end_amdgpu_metadata
